;; amdgpu-corpus repo=ROCm/aiter kind=harvested arch=n/a opt=n/a

/root/src/amdgpu-assembly/repos/ROCm__aiter/hsa/gfx942/fmoe_2stages/fmoe_stage1_bf16_pertokenInt8_g1u1_32x512_pf2.co:	file format elf64-amdgpu

Disassembly of section .text:

0000000000002a00 <_ZN5aiter45fmoe_stage1_bf16_pertokenInt8_g1u1_32x512_pf2E>:
	s_and_b32 s1, s1, 0xffff                                   // 000000002A00: 8601FF01 0000FFFF
	s_load_dwordx2 s[8:9], s[0:1], 0x0                         // 000000002A08: C0060200 00000000
	s_load_dwordx2 s[20:21], s[0:1], 0x10                      // 000000002A10: C0060500 00000010
	s_load_dwordx2 s[24:25], s[0:1], 0x20                      // 000000002A18: C0060600 00000020
	s_load_dwordx2 s[48:49], s[0:1], 0x30                      // 000000002A20: C0060C00 00000030
	s_load_dwordx2 s[28:29], s[0:1], 0x40                      // 000000002A28: C0060700 00000040
	s_load_dwordx2 s[32:33], s[0:1], 0x50                      // 000000002A30: C0060800 00000050
	s_load_dwordx2 s[36:37], s[0:1], 0x60                      // 000000002A38: C0060900 00000060
	s_load_dwordx2 s[12:13], s[0:1], 0x70                      // 000000002A40: C0060300 00000070
	s_load_dwordx2 s[44:45], s[0:1], 0x80                      // 000000002A48: C0060B00 00000080
	s_mov_b32 s89, 0                                           // 000000002A50: BED90080
	s_load_dword s64, s[0:1], 0x90                             // 000000002A54: C0021000 00000090
	s_load_dword s65, s[0:1], 0xa0                             // 000000002A5C: C0021040 000000A0
	s_load_dword s66, s[0:1], 0xb0                             // 000000002A64: C0021080 000000B0
	s_load_dword s67, s[0:1], 0xc0                             // 000000002A6C: C00210C0 000000C0
	s_load_dword s68, s[0:1], 0xd0                             // 000000002A74: C0021100 000000D0
	s_load_dword s69, s[0:1], 0xe0                             // 000000002A7C: C0021140 000000E0
	s_load_dword s71, s[0:1], 0xf0                             // 000000002A84: C00211C0 000000F0
	s_load_dword s72, s[0:1], 0x100                            // 000000002A8C: C0021200 00000100
	s_load_dword s74, s[0:1], 0x110                            // 000000002A94: C0021280 00000110
	s_load_dword s76, s[0:1], 0x120                            // 000000002A9C: C0021300 00000120
	s_load_dword s56, s[0:1], 0x130                            // 000000002AA4: C0020E00 00000130
	s_load_dword s88, s[0:1], 0x140                            // 000000002AAC: C0021600 00000140
	s_load_dword s89, s[0:1], 0x150                            // 000000002AB4: C0021640 00000150
	v_lshrrev_b32_e32 v1, 10, v0                               // 000000002ABC: 2002008A
	v_lshrrev_b32_e32 v2, 10, v1                               // 000000002AC0: 2004028A
	v_and_b32_e32 v2, 0x3ff, v2                                // 000000002AC4: 260404FF 000003FF
	v_and_b32_e32 v1, 0x3ff, v1                                // 000000002ACC: 260202FF 000003FF
	v_and_b32_e32 v0, 0x3ff, v0                                // 000000002AD4: 260000FF 000003FF
	v_lshrrev_b32_e32 v3, 6, v0                                // 000000002ADC: 20060086
	v_and_b32_e32 v0, 63, v0                                   // 000000002AE0: 260000BF
	s_mov_b32 s2, s2                                           // 000000002AE4: BE820002
	s_mov_b32 s3, s3                                           // 000000002AE8: BE830003
	s_mov_b32 s4, s4                                           // 000000002AEC: BE840004
	v_readfirstlane_b32 s7, v3                                 // 000000002AF0: 7E0E0503
	s_waitcnt lgkmcnt(0)                                       // 000000002AF4: BF8CC07F
	s_and_b32 s49, s49, 0xffff                                 // 000000002AF8: 8631FF31 0000FFFF
	s_load_dword s48, s[48:49], 0x0                            // 000000002B00: C0020C18 00000000
	s_and_b32 s45, s45, 0xffff                                 // 000000002B08: 862DFF2D 0000FFFF
	s_and_b32 s9, s9, 0xffff                                   // 000000002B10: 8609FF09 0000FFFF
	s_mul_i32 s60, s66, s68                                    // 000000002B18: 923C4442
	s_mul_i32 s61, s66, 4                                      // 000000002B1C: 923D8442
	s_mov_b32 s22, s60                                         // 000000002B20: BE96003C
	s_mov_b32 s26, -16                                         // 000000002B24: BE9A00D0
	s_mov_b32 s30, s61                                         // 000000002B28: BE9E003D
	s_mov_b32 s14, 0x80                                        // 000000002B2C: BE8E00FF 00000080
	s_mov_b32 s38, -16                                         // 000000002B34: BEA600D0
	s_mov_b32 s10, -16                                         // 000000002B38: BE8A00D0
	s_mov_b32 s34, 0x800                                       // 000000002B3C: BEA200FF 00000800
	s_mov_b32 s23, 0x20000                                     // 000000002B44: BE9700FF 00020000
	s_mov_b32 s27, 0x20000                                     // 000000002B4C: BE9B00FF 00020000
	s_mov_b32 s31, 0x20000                                     // 000000002B54: BE9F00FF 00020000
	s_mov_b32 s35, 0x20000                                     // 000000002B5C: BEA300FF 00020000
	s_mov_b32 s15, 0x20000                                     // 000000002B64: BE8F00FF 00020000
	s_mov_b32 s39, 0x20000                                     // 000000002B6C: BEA700FF 00020000
	s_mov_b32 s11, 0x20000                                     // 000000002B74: BE8B00FF 00020000
	s_and_b32 s21, s21, 0xffff                                 // 000000002B7C: 8615FF15 0000FFFF
	s_and_b32 s25, s25, 0xffff                                 // 000000002B84: 8619FF19 0000FFFF
	s_and_b32 s29, s29, 0xffff                                 // 000000002B8C: 861DFF1D 0000FFFF
	s_and_b32 s33, s33, 0xffff                                 // 000000002B94: 8621FF21 0000FFFF
	s_and_b32 s13, s13, 0xffff                                 // 000000002B9C: 860DFF0D 0000FFFF
	s_and_b32 s37, s37, 0xffff                                 // 000000002BA4: 8625FF25 0000FFFF
	s_or_b32 s21, s21, 0x40000                                 // 000000002BAC: 8715FF15 00040000
	s_or_b32 s25, s25, 0x40000                                 // 000000002BB4: 8719FF19 00040000
	s_or_b32 s29, s29, 0x40000                                 // 000000002BBC: 871DFF1D 00040000
	s_or_b32 s33, s33, 0x40000                                 // 000000002BC4: 8721FF21 00040000
	s_or_b32 s13, s13, 0x40000                                 // 000000002BCC: 870DFF0D 00040000
	s_or_b32 s37, s37, 0x40000                                 // 000000002BD4: 8725FF25 00040000
	v_accvgpr_write_b32 a159, 0                                // 000000002BDC: D3D9409F 18000080
	v_mov_b32_e32 v179, 0                                      // 000000002BE4: 7F660280
	s_waitcnt lgkmcnt(0)                                       // 000000002BE8: BF8CC07F
	s_mul_i32 s60, s3, 32                                      // 000000002BEC: 923CA003
	s_cmp_lt_i32 s60, s48                                      // 000000002BF0: BF04303C
	s_cbranch_scc0 label_2369                                  // 000000002BF4: BF8422E8
	s_mov_b32 s80, 0                                           // 000000002BF8: BED00080
	s_lshr_b32 s81, s64, s88                                   // 000000002BFC: 8F515840
	s_mul_i32 s60, s3, 4                                       // 000000002C00: 923C8403
	s_add_u32 s44, s60, s44                                    // 000000002C04: 802C2C3C
	s_addc_u32 s45, 0, s45                                     // 000000002C08: 822D2D80
	s_load_dword s5, s[44:45], 0x0                             // 000000002C0C: C0020156 00000000
	s_mul_i32 s60, s3, 32                                      // 000000002C14: 923CA003
	s_mul_i32 s60, 4, s60                                      // 000000002C18: 923C3C84
	s_add_u32 s12, s60, s12                                    // 000000002C1C: 800C0C3C
	s_addc_u32 s13, 0, s13                                     // 000000002C20: 820D0D80
	v_and_b32_e32 v4, 15, v0                                   // 000000002C24: 2608008F
	v_lshlrev_b32_e32 v4, 2, v4                                // 000000002C28: 24080882
	buffer_load_dword v29, v4, s[12:15], 0 offen               // 000000002C2C: E0501000 80031D04
	v_add_u32_e32 v4, 64, v4                                   // 000000002C34: 680808C0
	buffer_load_dword v30, v4, s[12:15], 0 offen               // 000000002C38: E0501000 80031E04
	v_add_u32_e32 v4, 64, v4                                   // 000000002C40: 680808C0
	s_mul_i32 s60, 4, s7                                       // 000000002C44: 923C0784
	v_lshlrev_b32_e32 v4, 4, v0                                // 000000002C48: 24080084
	v_add_u32_e32 v4, s60, v4                                  // 000000002C4C: 6808083C
	buffer_load_dword v3, v4, s[12:15], 0 offen                // 000000002C50: E0501000 80030304
	v_mov_b32_e32 v52, 0                                       // 000000002C58: 7E680280
	v_mov_b32_e32 v116, 0                                      // 000000002C5C: 7EE80280
	v_mov_b32_e32 v53, 0                                       // 000000002C60: 7E6A0280
	v_mov_b32_e32 v117, 0                                      // 000000002C64: 7EEA0280
	v_mov_b32_e32 v54, 0                                       // 000000002C68: 7E6C0280
	v_mov_b32_e32 v118, 0                                      // 000000002C6C: 7EEC0280
	v_mov_b32_e32 v55, 0                                       // 000000002C70: 7E6E0280
	v_mov_b32_e32 v119, 0                                      // 000000002C74: 7EEE0280
	v_mov_b32_e32 v56, 0                                       // 000000002C78: 7E700280
	v_mov_b32_e32 v120, 0                                      // 000000002C7C: 7EF00280
	v_mov_b32_e32 v57, 0                                       // 000000002C80: 7E720280
	v_mov_b32_e32 v121, 0                                      // 000000002C84: 7EF20280
	v_mov_b32_e32 v58, 0                                       // 000000002C88: 7E740280
	v_mov_b32_e32 v122, 0                                      // 000000002C8C: 7EF40280
	v_mov_b32_e32 v59, 0                                       // 000000002C90: 7E760280
	v_mov_b32_e32 v123, 0                                      // 000000002C94: 7EF60280
	v_mov_b32_e32 v60, 0                                       // 000000002C98: 7E780280
	v_mov_b32_e32 v124, 0                                      // 000000002C9C: 7EF80280
	v_mov_b32_e32 v61, 0                                       // 000000002CA0: 7E7A0280
	v_mov_b32_e32 v125, 0                                      // 000000002CA4: 7EFA0280
	v_mov_b32_e32 v62, 0                                       // 000000002CA8: 7E7C0280
	v_mov_b32_e32 v126, 0                                      // 000000002CAC: 7EFC0280
	v_mov_b32_e32 v63, 0                                       // 000000002CB0: 7E7E0280
	v_mov_b32_e32 v127, 0                                      // 000000002CB4: 7EFE0280
	v_mov_b32_e32 v64, 0                                       // 000000002CB8: 7E800280
	v_mov_b32_e32 v128, 0                                      // 000000002CBC: 7F000280
	v_mov_b32_e32 v65, 0                                       // 000000002CC0: 7E820280
	v_mov_b32_e32 v129, 0                                      // 000000002CC4: 7F020280
	v_mov_b32_e32 v66, 0                                       // 000000002CC8: 7E840280
	v_mov_b32_e32 v130, 0                                      // 000000002CCC: 7F040280
	v_mov_b32_e32 v67, 0                                       // 000000002CD0: 7E860280
	v_mov_b32_e32 v131, 0                                      // 000000002CD4: 7F060280
	v_mov_b32_e32 v68, 0                                       // 000000002CD8: 7E880280
	v_mov_b32_e32 v132, 0                                      // 000000002CDC: 7F080280
	v_mov_b32_e32 v69, 0                                       // 000000002CE0: 7E8A0280
	v_mov_b32_e32 v133, 0                                      // 000000002CE4: 7F0A0280
	v_mov_b32_e32 v70, 0                                       // 000000002CE8: 7E8C0280
	v_mov_b32_e32 v134, 0                                      // 000000002CEC: 7F0C0280
	v_mov_b32_e32 v71, 0                                       // 000000002CF0: 7E8E0280
	v_mov_b32_e32 v135, 0                                      // 000000002CF4: 7F0E0280
	v_mov_b32_e32 v72, 0                                       // 000000002CF8: 7E900280
	v_mov_b32_e32 v136, 0                                      // 000000002CFC: 7F100280
	v_mov_b32_e32 v73, 0                                       // 000000002D00: 7E920280
	v_mov_b32_e32 v137, 0                                      // 000000002D04: 7F120280
	v_mov_b32_e32 v74, 0                                       // 000000002D08: 7E940280
	v_mov_b32_e32 v138, 0                                      // 000000002D0C: 7F140280
	v_mov_b32_e32 v75, 0                                       // 000000002D10: 7E960280
	v_mov_b32_e32 v139, 0                                      // 000000002D14: 7F160280
	v_mov_b32_e32 v76, 0                                       // 000000002D18: 7E980280
	v_mov_b32_e32 v140, 0                                      // 000000002D1C: 7F180280
	v_mov_b32_e32 v77, 0                                       // 000000002D20: 7E9A0280
	v_mov_b32_e32 v141, 0                                      // 000000002D24: 7F1A0280
	v_mov_b32_e32 v78, 0                                       // 000000002D28: 7E9C0280
	v_mov_b32_e32 v142, 0                                      // 000000002D2C: 7F1C0280
	v_mov_b32_e32 v79, 0                                       // 000000002D30: 7E9E0280
	v_mov_b32_e32 v143, 0                                      // 000000002D34: 7F1E0280
	v_mov_b32_e32 v80, 0                                       // 000000002D38: 7EA00280
	v_mov_b32_e32 v144, 0                                      // 000000002D3C: 7F200280
	v_mov_b32_e32 v81, 0                                       // 000000002D40: 7EA20280
	v_mov_b32_e32 v145, 0                                      // 000000002D44: 7F220280
	v_mov_b32_e32 v82, 0                                       // 000000002D48: 7EA40280
	v_mov_b32_e32 v146, 0                                      // 000000002D4C: 7F240280
	v_mov_b32_e32 v83, 0                                       // 000000002D50: 7EA60280
	v_mov_b32_e32 v147, 0                                      // 000000002D54: 7F260280
	v_mov_b32_e32 v84, 0                                       // 000000002D58: 7EA80280
	v_mov_b32_e32 v148, 0                                      // 000000002D5C: 7F280280
	v_mov_b32_e32 v85, 0                                       // 000000002D60: 7EAA0280
	v_mov_b32_e32 v149, 0                                      // 000000002D64: 7F2A0280
	v_mov_b32_e32 v86, 0                                       // 000000002D68: 7EAC0280
	v_mov_b32_e32 v150, 0                                      // 000000002D6C: 7F2C0280
	v_mov_b32_e32 v87, 0                                       // 000000002D70: 7EAE0280
	v_mov_b32_e32 v151, 0                                      // 000000002D74: 7F2E0280
	v_mov_b32_e32 v88, 0                                       // 000000002D78: 7EB00280
	v_mov_b32_e32 v152, 0                                      // 000000002D7C: 7F300280
	v_mov_b32_e32 v89, 0                                       // 000000002D80: 7EB20280
	v_mov_b32_e32 v153, 0                                      // 000000002D84: 7F320280
	v_mov_b32_e32 v90, 0                                       // 000000002D88: 7EB40280
	v_mov_b32_e32 v154, 0                                      // 000000002D8C: 7F340280
	v_mov_b32_e32 v91, 0                                       // 000000002D90: 7EB60280
	v_mov_b32_e32 v155, 0                                      // 000000002D94: 7F360280
	v_mov_b32_e32 v92, 0                                       // 000000002D98: 7EB80280
	v_mov_b32_e32 v156, 0                                      // 000000002D9C: 7F380280
	v_mov_b32_e32 v93, 0                                       // 000000002DA0: 7EBA0280
	v_mov_b32_e32 v157, 0                                      // 000000002DA4: 7F3A0280
	v_mov_b32_e32 v94, 0                                       // 000000002DA8: 7EBC0280
	v_mov_b32_e32 v158, 0                                      // 000000002DAC: 7F3C0280
	v_mov_b32_e32 v95, 0                                       // 000000002DB0: 7EBE0280
	v_mov_b32_e32 v159, 0                                      // 000000002DB4: 7F3E0280
	v_mov_b32_e32 v96, 0                                       // 000000002DB8: 7EC00280
	v_mov_b32_e32 v160, 0                                      // 000000002DBC: 7F400280
	v_mov_b32_e32 v97, 0                                       // 000000002DC0: 7EC20280
	v_mov_b32_e32 v161, 0                                      // 000000002DC4: 7F420280
	v_mov_b32_e32 v98, 0                                       // 000000002DC8: 7EC40280
	v_mov_b32_e32 v162, 0                                      // 000000002DCC: 7F440280
	v_mov_b32_e32 v99, 0                                       // 000000002DD0: 7EC60280
	v_mov_b32_e32 v163, 0                                      // 000000002DD4: 7F460280
	v_mov_b32_e32 v100, 0                                      // 000000002DD8: 7EC80280
	v_mov_b32_e32 v164, 0                                      // 000000002DDC: 7F480280
	v_mov_b32_e32 v101, 0                                      // 000000002DE0: 7ECA0280
	v_mov_b32_e32 v165, 0                                      // 000000002DE4: 7F4A0280
	v_mov_b32_e32 v102, 0                                      // 000000002DE8: 7ECC0280
	v_mov_b32_e32 v166, 0                                      // 000000002DEC: 7F4C0280
	v_mov_b32_e32 v103, 0                                      // 000000002DF0: 7ECE0280
	v_mov_b32_e32 v167, 0                                      // 000000002DF4: 7F4E0280
	v_mov_b32_e32 v104, 0                                      // 000000002DF8: 7ED00280
	v_mov_b32_e32 v168, 0                                      // 000000002DFC: 7F500280
	v_mov_b32_e32 v105, 0                                      // 000000002E00: 7ED20280
	v_mov_b32_e32 v169, 0                                      // 000000002E04: 7F520280
	v_mov_b32_e32 v106, 0                                      // 000000002E08: 7ED40280
	v_mov_b32_e32 v170, 0                                      // 000000002E0C: 7F540280
	v_mov_b32_e32 v107, 0                                      // 000000002E10: 7ED60280
	v_mov_b32_e32 v171, 0                                      // 000000002E14: 7F560280
	v_mov_b32_e32 v108, 0                                      // 000000002E18: 7ED80280
	v_mov_b32_e32 v172, 0                                      // 000000002E1C: 7F580280
	v_mov_b32_e32 v109, 0                                      // 000000002E20: 7EDA0280
	v_mov_b32_e32 v173, 0                                      // 000000002E24: 7F5A0280
	v_mov_b32_e32 v110, 0                                      // 000000002E28: 7EDC0280
	v_mov_b32_e32 v174, 0                                      // 000000002E2C: 7F5C0280
	v_mov_b32_e32 v111, 0                                      // 000000002E30: 7EDE0280
	v_mov_b32_e32 v175, 0                                      // 000000002E34: 7F5E0280
	v_mov_b32_e32 v112, 0                                      // 000000002E38: 7EE00280
	v_mov_b32_e32 v176, 0                                      // 000000002E3C: 7F600280
	v_mov_b32_e32 v113, 0                                      // 000000002E40: 7EE20280
	v_mov_b32_e32 v177, 0                                      // 000000002E44: 7F620280
	v_mov_b32_e32 v114, 0                                      // 000000002E48: 7EE40280
	v_mov_b32_e32 v178, 0                                      // 000000002E4C: 7F640280
	v_mov_b32_e32 v115, 0                                      // 000000002E50: 7EE60280
	v_mov_b32_e32 v179, 0                                      // 000000002E54: 7F660280
	s_mul_i32 s60, s2, 0x400                                   // 000000002E58: 923CFF02 00000400
	s_cmp_eq_u32 s88, 0                                        // 000000002E60: BF068058
	s_cselect_b32 s61, 1, 2                                    // 000000002E64: 853D8281
	s_mul_i32 s60, s60, s61                                    // 000000002E68: 923C3D3C
	s_mov_b32 s90, s8                                          // 000000002E6C: BEDA0008
	s_mov_b32 s91, s9                                          // 000000002E70: BEDB0009
	s_add_u32 s8, s60, s8                                      // 000000002E74: 8008083C
	s_addc_u32 s9, 0, s9                                       // 000000002E78: 82090980
	v_lshrrev_b32_e32 v4, 4, v0                                // 000000002E7C: 20080084
	v_mul_lo_u32 v20, 34, v4                                   // 000000002E80: D2850014 000208A2
	v_and_b32_e32 v4, 15, v0                                   // 000000002E88: 2608008F
	v_mul_lo_u32 v5, 2, v4                                     // 000000002E8C: D2850005 00020882
	v_add_u32_e32 v20, v5, v20                                 // 000000002E94: 68282905
	s_mul_i32 s60, s7, 0x88                                    // 000000002E98: 923CFF07 00000088
	v_add_u32_e32 v20, s60, v20                                // 000000002EA0: 6828283C
	v_lshlrev_b32_e32 v20, 2, v20                              // 000000002EA4: 24282882
	v_and_b32_e32 v4, 31, v0                                   // 000000002EA8: 2608009F
	v_lshrrev_b32_e32 v4, 1, v4                                // 000000002EAC: 20080881
	v_mul_lo_u32 v21, 34, v4                                   // 000000002EB0: D2850015 000208A2
	v_lshrrev_b32_e32 v4, 5, v0                                // 000000002EB8: 20080085
	v_mul_lo_u32 v4, 8, v4                                     // 000000002EBC: D2850004 00020888
	v_add_u32_e32 v21, v21, v4                                 // 000000002EC4: 682A0915
	v_and_b32_e32 v5, 1, v0                                    // 000000002EC8: 260A0081
	v_add_u32_e32 v21, v5, v21                                 // 000000002ECC: 682A2B05
	s_mul_i32 s60, s7, 2                                       // 000000002ED0: 923C8207
	v_add_u32_e32 v21, s60, v21                                // 000000002ED4: 682A2A3C
	v_lshlrev_b32_e32 v21, 2, v21                              // 000000002ED8: 242A2A82
	s_mul_i32 s60, s7, 0x420                                   // 000000002EDC: 923CFF07 00000420
	s_add_u32 s48, 0, s60                                      // 000000002EE4: 80303C80
	s_add_u32 s49, 0x1080, s48                                 // 000000002EE8: 803130FF 00001080
	v_lshrrev_b32_e32 v4, 4, v0                                // 000000002EF0: 20080084
	v_lshlrev_b32_e32 v5, 2, v4                                // 000000002EF4: 240A0882
	v_and_b32_e32 v4, 15, v0                                   // 000000002EF8: 2608008F
	v_lshrrev_b32_e32 v6, 2, v4                                // 000000002EFC: 200C0882
	v_lshlrev_b32_e32 v6, 5, v6                                // 000000002F00: 240C0C85
	v_add_u32_e32 v5, v6, v5                                   // 000000002F04: 680A0B06
	v_and_b32_e32 v4, 3, v0                                    // 000000002F08: 26080083
	v_mul_u32_u24_e32 v6, 0x108, v4                            // 000000002F0C: 100C08FF 00000108
	v_add_u32_e32 v5, v6, v5                                   // 000000002F14: 680A0B06
	v_lshlrev_b32_e32 v2, 2, v5                                // 000000002F18: 24040A82
	s_waitcnt lgkmcnt(0)                                       // 000000002F1C: BF8CC07F
	s_mul_i32 s60, s2, 0x200                                   // 000000002F20: 923CFF02 00000200
	s_mul_i32 s60, s60, s69                                    // 000000002F28: 923C453C
	s_mul_i32 s61, s5, s72                                     // 000000002F2C: 923D4805
	s_add_u32 s60, s61, s60                                    // 000000002F30: 803C3C3D
	s_add_u32 s24, s60, s24                                    // 000000002F34: 8018183C
	s_addc_u32 s25, 0, s25                                     // 000000002F38: 82191980
	s_lshr_b32 s60, s64, s88                                   // 000000002F3C: 8F3C5840
	s_mul_i32 s60, s4, s60                                     // 000000002F40: 923C3C04
	s_lshr_b32 s60, s60, 7                                     // 000000002F44: 8F3C873C
	s_mul_i32 s60, s60, 0x800                                  // 000000002F48: 923CFF3C 00000800
	s_add_u32 s24, s60, s24                                    // 000000002F50: 8018183C
	s_addc_u32 s25, 0, s25                                     // 000000002F54: 82191980
	s_lshr_b32 s60, s69, s88                                   // 000000002F58: 8F3C5845
	s_mul_i32 s60, s4, s60                                     // 000000002F5C: 923C3C04
	s_add_u32 s20, s60, s20                                    // 000000002F60: 8014143C
	s_addc_u32 s21, 0, s21                                     // 000000002F64: 82151580
	s_mul_i32 s60, s7, 16                                      // 000000002F68: 923C9007
	s_mul_i32 s60, s60, s69                                    // 000000002F6C: 923C453C
	v_lshlrev_b32_e32 v41, 4, v0                               // 000000002F70: 24520084
	v_add_u32_e32 v41, s60, v41                                // 000000002F74: 6852523C
	s_mul_i32 s60, 64, s69                                     // 000000002F78: 923C45C0
	v_add_u32_e32 v42, s60, v41                                // 000000002F7C: 6854523C
	v_add_u32_e32 v43, s60, v42                                // 000000002F80: 6856543C
	v_add_u32_e32 v44, s60, v43                                // 000000002F84: 6858563C
	v_add_u32_e32 v45, s60, v44                                // 000000002F88: 685A583C
	v_add_u32_e32 v46, s60, v45                                // 000000002F8C: 685C5A3C
	v_add_u32_e32 v47, s60, v46                                // 000000002F90: 685E5C3C
	v_add_u32_e32 v48, s60, v47                                // 000000002F94: 68605E3C
	s_mov_b32 s84, s24                                         // 000000002F98: BED40018
	s_mov_b32 s85, s25                                         // 000000002F9C: BED50019
	s_mov_b32 s86, s26                                         // 000000002FA0: BED6001A
	s_mov_b32 s87, s27                                         // 000000002FA4: BED7001B
	s_mul_i32 s60, s69, s65                                    // 000000002FA8: 923C4145
	s_add_u32 s84, s60, s84                                    // 000000002FAC: 8054543C
	s_addc_u32 s85, 0, s85                                     // 000000002FB0: 82555580
	v_lshrrev_b32_e32 v4, 4, v0                                // 000000002FB4: 20080084
	v_lshlrev_b32_e32 v5, 2, v4                                // 000000002FB8: 240A0882
	v_and_b32_e32 v4, 15, v0                                   // 000000002FBC: 2608008F
	v_lshrrev_b32_e32 v6, 2, v4                                // 000000002FC0: 200C0882
	v_lshlrev_b32_e32 v6, 6, v6                                // 000000002FC4: 240C0C86
	v_add_u32_e32 v5, v6, v5                                   // 000000002FC8: 680A0B06
	v_and_b32_e32 v4, 3, v0                                    // 000000002FCC: 26080083
	v_add_u32_e32 v5, v4, v5                                   // 000000002FD0: 680A0B04
	v_lshlrev_b32_e32 v22, 2, v5                               // 000000002FD4: 242C0A82
	v_add_u32_e32 v23, 0x400, v22                              // 000000002FD8: 682E2CFF 00000400
	s_mul_i32 s60, s7, 16                                      // 000000002FE0: 923C9007
	s_mul_i32 s60, s60, 4                                      // 000000002FE4: 923C843C
	v_add_u32_e32 v22, s60, v22                                // 000000002FE8: 682C2C3C
	v_add_u32_e32 v23, s60, v23                                // 000000002FEC: 682E2E3C
	s_mul_i32 s60, s2, 0x200                                   // 000000002FF0: 923CFF02 00000200
	s_mul_i32 s60, s60, 4                                      // 000000002FF8: 923C843C
	s_mul_i32 s61, s5, s74                                     // 000000002FFC: 923D4A05
	s_add_u32 s61, s61, s60                                    // 000000003000: 803D3C3D
	s_add_u32 s32, s61, s32                                    // 000000003004: 8020203D
	s_addc_u32 s33, 0, s33                                     // 000000003008: 82212180
	s_mov_b32 s57, 0x80                                        // 00000000300C: BEB900FF 00000080
	s_mov_b32 s58, 0x800                                       // 000000003014: BEBA00FF 00000800
	s_mov_b32 s83, s58                                         // 00000000301C: BED3003A
	s_mov_b32 s52, 0x7060302                                   // 000000003020: BEB400FF 07060302
	s_mov_b32 s53, 0x400                                       // 000000003028: BEB500FF 00000400
	s_mov_b32 s54, 0x40100                                     // 000000003030: BEB600FF 00040100
	s_mov_b32 s55, 0x4020100                                   // 000000003038: BEB700FF 04020100
	s_mov_b32 s6, 0x3fb8aa3b                                   // 000000003040: BE8600FF 3FB8AA3B
	s_mov_b32 s78, 0xbd92220c                                  // 000000003048: BECE00FF BD92220C
	s_mov_b32 s79, 0xbd92220c                                  // 000000003050: BECF00FF BD92220C
	s_mov_b32 m0, s48                                          // 000000003058: BEFC0030
	v_mov_b32_e32 v1, 0xbfcc4231                               // 00000000305C: 7E0202FF BFCC4231
	v_mov_b32_e32 v17, 0xffff0000                              // 000000003064: 7E2202FF FFFF0000
	v_mov_b32_e32 v18, 0x7fff0000                              // 00000000306C: 7E2402FF 7FFF0000
	v_mov_b32_e32 v19, 0x7fff                                  // 000000003074: 7E2602FF 00007FFF
	s_waitcnt vmcnt(0) expcnt(0) lgkmcnt(0)                    // 00000000307C: BF8C0000
	v_lshrrev_b32_e32 v4, 5, v0                                // 000000003080: 20080085
	v_xor_b32_e32 v5, 1, v4                                    // 000000003084: 2A0A0881
	v_readlane_b32 s82, v3, 0                                  // 000000003088: D2890052 00010103
	s_and_b32 s82, s82, 0xffffff                               // 000000003090: 8652FF52 00FFFFFF
	v_mul_lo_u32 v6, v5, s82                                   // 000000003098: D2850006 0000A505
	v_readlane_b32 s82, v3, 1                                  // 0000000030A0: D2890052 00010303
	s_and_b32 s82, s82, 0xffffff                               // 0000000030A8: 8652FF52 00FFFFFF
	v_mul_lo_u32 v7, v4, s82                                   // 0000000030B0: D2850007 0000A504
	v_add_u32_e32 v37, v6, v7                                  // 0000000030B8: 684A0F06
	v_mul_lo_u32 v37, v37, s68                                 // 0000000030BC: D2850025 00008925
	v_readlane_b32 s82, v3, 2                                  // 0000000030C4: D2890052 00010503
	s_and_b32 s82, s82, 0xffffff                               // 0000000030CC: 8652FF52 00FFFFFF
	v_mul_lo_u32 v6, v5, s82                                   // 0000000030D4: D2850006 0000A505
	v_readlane_b32 s82, v3, 3                                  // 0000000030DC: D2890052 00010703
	s_and_b32 s82, s82, 0xffffff                               // 0000000030E4: 8652FF52 00FFFFFF
	v_mul_lo_u32 v7, v4, s82                                   // 0000000030EC: D2850007 0000A504
	v_add_u32_e32 v38, v6, v7                                  // 0000000030F4: 684C0F06
	v_mul_lo_u32 v38, v38, s68                                 // 0000000030F8: D2850026 00008926
	v_readlane_b32 s82, v3, 4                                  // 000000003100: D2890052 00010903
	s_and_b32 s82, s82, 0xffffff                               // 000000003108: 8652FF52 00FFFFFF
	v_mul_lo_u32 v6, v5, s82                                   // 000000003110: D2850006 0000A505
	v_readlane_b32 s82, v3, 5                                  // 000000003118: D2890052 00010B03
	s_and_b32 s82, s82, 0xffffff                               // 000000003120: 8652FF52 00FFFFFF
	v_mul_lo_u32 v7, v4, s82                                   // 000000003128: D2850007 0000A504
	v_add_u32_e32 v39, v6, v7                                  // 000000003130: 684E0F06
	v_mul_lo_u32 v39, v39, s68                                 // 000000003134: D2850027 00008927
	v_readlane_b32 s82, v3, 6                                  // 00000000313C: D2890052 00010D03
	s_and_b32 s82, s82, 0xffffff                               // 000000003144: 8652FF52 00FFFFFF
	v_mul_lo_u32 v6, v5, s82                                   // 00000000314C: D2850006 0000A505
	v_readlane_b32 s82, v3, 7                                  // 000000003154: D2890052 00010F03
	s_and_b32 s82, s82, 0xffffff                               // 00000000315C: 8652FF52 00FFFFFF
	v_mul_lo_u32 v7, v4, s82                                   // 000000003164: D2850007 0000A504
	v_add_u32_e32 v40, v6, v7                                  // 00000000316C: 68500F06
	v_mul_lo_u32 v40, v40, s68                                 // 000000003170: D2850028 00008928
	v_and_b32_e32 v4, 31, v0                                   // 000000003178: 2608009F
	v_lshlrev_b32_e32 v4, 2, v4                                // 00000000317C: 24080882
	v_add_u32_e32 v37, v37, v4                                 // 000000003180: 684A0925
	v_add_u32_e32 v38, v38, v4                                 // 000000003184: 684C0926
	v_add_u32_e32 v39, v39, v4                                 // 000000003188: 684E0927
	v_add_u32_e32 v40, v40, v4                                 // 00000000318C: 68500928
	v_and_b32_e32 v29, 0xffffff, v29                           // 000000003190: 263A3AFF 00FFFFFF
	v_lshlrev_b32_e32 v29, 2, v29                              // 000000003198: 243A3A82
	v_and_b32_e32 v30, 0xffffff, v30                           // 00000000319C: 263C3CFF 00FFFFFF
	v_lshlrev_b32_e32 v30, 2, v30                              // 0000000031A4: 243C3C82
	s_lshl_b32 s3, s66, 2                                      // 0000000031A8: 8E038242
	buffer_load_dword v31, v29, s[28:31], 0 offen              // 0000000031AC: E0501000 80071F1D
	buffer_load_dword v32, v30, s[28:31], 0 offen              // 0000000031B4: E0501000 8007201E
	buffer_load_dword v25, v22, s[32:35], 0 offen              // 0000000031BC: E0501000 80081916
	buffer_load_dword v26, v23, s[32:35], 0 offen              // 0000000031C4: E0501000 80081A17
	s_mul_i32 s60, 4, s65                                      // 0000000031CC: 923C4184
	s_add_u32 s32, s60, s32                                    // 0000000031D0: 8020203C
	s_addc_u32 s33, 0, s33                                     // 0000000031D4: 82212180
	buffer_load_dword v27, v22, s[32:35], 0 offen              // 0000000031D8: E0501000 80081B16
	buffer_load_dword v28, v23, s[32:35], 0 offen              // 0000000031E0: E0501000 80081C17
	buffer_load_dword v37, s[20:23], 0 offen lds               // 0000000031E8: E0511000 80050025
	s_add_u32 m0, 0x100, s48                                   // 0000000031F0: 807C30FF 00000100
	buffer_load_dword v38, s[20:23], 0 offen lds               // 0000000031F8: E0511000 80050026
	s_add_u32 m0, 0x200, s48                                   // 000000003200: 807C30FF 00000200
	buffer_load_dword v39, s[20:23], 0 offen lds               // 000000003208: E0511000 80050027
	s_add_u32 m0, 0x300, s48                                   // 000000003210: 807C30FF 00000300
	buffer_load_dword v40, s[20:23], 0 offen lds               // 000000003218: E0511000 80050028
	s_add_u32 m0, 0, s49                                       // 000000003220: 807C3180
	s_add_u32 s20, s57, s20                                    // 000000003224: 80141439
	s_addc_u32 s21, 0, s21                                     // 000000003228: 82151580
	buffer_load_dword v37, s[20:23], 0 offen lds               // 00000000322C: E0511000 80050025
	s_add_u32 m0, 0x100, s49                                   // 000000003234: 807C31FF 00000100
	buffer_load_dword v38, s[20:23], 0 offen lds               // 00000000323C: E0511000 80050026
	s_add_u32 m0, 0x200, s49                                   // 000000003244: 807C31FF 00000200
	buffer_load_dword v39, s[20:23], 0 offen lds               // 00000000324C: E0511000 80050027
	s_add_u32 m0, 0x300, s49                                   // 000000003254: 807C31FF 00000300
	buffer_load_dword v40, s[20:23], 0 offen lds               // 00000000325C: E0511000 80050028
	s_add_u32 m0, 0, s48                                       // 000000003264: 807C3080
	s_add_u32 s20, s57, s20                                    // 000000003268: 80141439
	s_addc_u32 s21, 0, s21                                     // 00000000326C: 82151580
	buffer_load_dwordx4 a[32:35], v41, s[24:27], 0 offen       // 000000003270: E05C1000 80862029
	buffer_load_dwordx4 a[36:39], v41, s[24:27], 0 offen offset:1024// 000000003278: E05C1400 80862429
	buffer_load_dwordx4 a[40:43], v42, s[24:27], 0 offen       // 000000003280: E05C1000 8086282A
	buffer_load_dwordx4 a[44:47], v42, s[24:27], 0 offen offset:1024// 000000003288: E05C1400 80862C2A
	buffer_load_dwordx4 a[48:51], v43, s[24:27], 0 offen       // 000000003290: E05C1000 8086302B
	buffer_load_dwordx4 a[52:55], v43, s[24:27], 0 offen offset:1024// 000000003298: E05C1400 8086342B
	buffer_load_dwordx4 a[56:59], v44, s[24:27], 0 offen       // 0000000032A0: E05C1000 8086382C
	buffer_load_dwordx4 a[60:63], v44, s[24:27], 0 offen offset:1024// 0000000032A8: E05C1400 80863C2C
	buffer_load_dwordx4 a[64:67], v45, s[24:27], 0 offen       // 0000000032B0: E05C1000 8086402D
	buffer_load_dwordx4 a[68:71], v45, s[24:27], 0 offen offset:1024// 0000000032B8: E05C1400 8086442D
	buffer_load_dwordx4 a[72:75], v46, s[24:27], 0 offen       // 0000000032C0: E05C1000 8086482E
	buffer_load_dwordx4 a[76:79], v46, s[24:27], 0 offen offset:1024// 0000000032C8: E05C1400 80864C2E
	buffer_load_dwordx4 a[80:83], v47, s[24:27], 0 offen       // 0000000032D0: E05C1000 8086502F
	buffer_load_dwordx4 a[84:87], v47, s[24:27], 0 offen offset:1024// 0000000032D8: E05C1400 8086542F
	buffer_load_dwordx4 a[88:91], v48, s[24:27], 0 offen       // 0000000032E0: E05C1000 80865830
	buffer_load_dwordx4 a[92:95], v48, s[24:27], 0 offen offset:1024// 0000000032E8: E05C1400 80865C30
	s_add_u32 s24, s58, s24                                    // 0000000032F0: 8018183A
	s_addc_u32 s25, 0, s25                                     // 0000000032F4: 82191980
	s_waitcnt vmcnt(20)                                        // 0000000032F8: BF8C4F74
	s_barrier                                                  // 0000000032FC: BF8A0000
	ds_read_b128 a[0:3], v2                                    // 000000003300: DBFE0000 00000002
	ds_read_b128 a[4:7], v2 offset:64                          // 000000003308: DBFE0040 04000002
	ds_read_b128 a[8:11], v2 offset:512                        // 000000003310: DBFE0200 08000002
	ds_read_b128 a[12:15], v2 offset:576                       // 000000003318: DBFE0240 0C000002
	s_cmp_lt_i32 s7, 2                                         // 000000003320: BF048207
	s_cbranch_scc0 label_12DB                                  // 000000003324: BF84108E

0000000000003328 <label_024A>:
	s_waitcnt vmcnt(14) lgkmcnt(0)                             // 000000003328: BF8C007E
	s_barrier                                                  // 00000000332C: BF8A0000
	v_mfma_i32_16x16x32_i8 v[52:55], a[32:33], a[0:1], v[52:55]// 000000003330: D3D70034 1CD20120
	v_mfma_i32_16x16x32_i8 v[52:55], a[34:35], a[2:3], v[52:55]// 000000003338: D3D70034 1CD20522
	buffer_load_dwordx4 a[96:99], v41, s[84:87], 0 offen       // 000000003340: E05C1000 80956029
	v_mfma_i32_16x16x32_i8 v[52:55], a[36:37], a[4:5], v[52:55]// 000000003348: D3D70034 1CD20924
	v_mfma_i32_16x16x32_i8 v[52:55], a[38:39], a[6:7], v[52:55]// 000000003350: D3D70034 1CD20D26
	v_mfma_i32_16x16x32_i8 v[56:59], a[32:33], a[8:9], v[56:59]// 000000003358: D3D70038 1CE21120
	v_mfma_i32_16x16x32_i8 v[56:59], a[34:35], a[10:11], v[56:59]// 000000003360: D3D70038 1CE21522
	buffer_load_dwordx4 a[100:103], v41, s[84:87], 0 offen offset:1024// 000000003368: E05C1400 80956429
	v_mfma_i32_16x16x32_i8 v[56:59], a[36:37], a[12:13], v[56:59]// 000000003370: D3D70038 1CE21924
	v_mfma_i32_16x16x32_i8 v[56:59], a[38:39], a[14:15], v[56:59]// 000000003378: D3D70038 1CE21D26
	s_waitcnt vmcnt(14)                                        // 000000003380: BF8C0F7E
	v_mfma_i32_16x16x32_i8 v[60:63], a[40:41], a[0:1], v[60:63]// 000000003384: D3D7003C 1CF20128
	v_mfma_i32_16x16x32_i8 v[60:63], a[42:43], a[2:3], v[60:63]// 00000000338C: D3D7003C 1CF2052A
	buffer_load_dwordx4 a[104:107], v42, s[84:87], 0 offen     // 000000003394: E05C1000 8095682A
	v_mfma_i32_16x16x32_i8 v[60:63], a[44:45], a[4:5], v[60:63]// 00000000339C: D3D7003C 1CF2092C
	v_mfma_i32_16x16x32_i8 v[60:63], a[46:47], a[6:7], v[60:63]// 0000000033A4: D3D7003C 1CF20D2E
	v_mfma_i32_16x16x32_i8 v[64:67], a[40:41], a[8:9], v[64:67]// 0000000033AC: D3D70040 1D021128
	v_mfma_i32_16x16x32_i8 v[64:67], a[42:43], a[10:11], v[64:67]// 0000000033B4: D3D70040 1D02152A
	buffer_load_dwordx4 a[108:111], v42, s[84:87], 0 offen offset:1024// 0000000033BC: E05C1400 80956C2A
	v_mfma_i32_16x16x32_i8 v[64:67], a[44:45], a[12:13], v[64:67]// 0000000033C4: D3D70040 1D02192C
	v_mfma_i32_16x16x32_i8 v[64:67], a[46:47], a[14:15], v[64:67]// 0000000033CC: D3D70040 1D021D2E
	s_waitcnt vmcnt(14)                                        // 0000000033D4: BF8C0F7E
	v_mfma_i32_16x16x32_i8 v[68:71], a[48:49], a[0:1], v[68:71]// 0000000033D8: D3D70044 1D120130
	v_mfma_i32_16x16x32_i8 v[68:71], a[50:51], a[2:3], v[68:71]// 0000000033E0: D3D70044 1D120532
	buffer_load_dwordx4 a[112:115], v43, s[84:87], 0 offen     // 0000000033E8: E05C1000 8095702B
	v_mfma_i32_16x16x32_i8 v[68:71], a[52:53], a[4:5], v[68:71]// 0000000033F0: D3D70044 1D120934
	v_mfma_i32_16x16x32_i8 v[68:71], a[54:55], a[6:7], v[68:71]// 0000000033F8: D3D70044 1D120D36
	v_mfma_i32_16x16x32_i8 v[72:75], a[48:49], a[8:9], v[72:75]// 000000003400: D3D70048 1D221130
	v_mfma_i32_16x16x32_i8 v[72:75], a[50:51], a[10:11], v[72:75]// 000000003408: D3D70048 1D221532
	buffer_load_dwordx4 a[116:119], v43, s[84:87], 0 offen offset:1024// 000000003410: E05C1400 8095742B
	v_mfma_i32_16x16x32_i8 v[72:75], a[52:53], a[12:13], v[72:75]// 000000003418: D3D70048 1D221934
	v_mfma_i32_16x16x32_i8 v[72:75], a[54:55], a[14:15], v[72:75]// 000000003420: D3D70048 1D221D36
	s_waitcnt vmcnt(14)                                        // 000000003428: BF8C0F7E
	v_mfma_i32_16x16x32_i8 v[76:79], a[56:57], a[0:1], v[76:79]// 00000000342C: D3D7004C 1D320138
	v_mfma_i32_16x16x32_i8 v[76:79], a[58:59], a[2:3], v[76:79]// 000000003434: D3D7004C 1D32053A
	buffer_load_dwordx4 a[120:123], v44, s[84:87], 0 offen     // 00000000343C: E05C1000 8095782C
	v_mfma_i32_16x16x32_i8 v[76:79], a[60:61], a[4:5], v[76:79]// 000000003444: D3D7004C 1D32093C
	v_mfma_i32_16x16x32_i8 v[76:79], a[62:63], a[6:7], v[76:79]// 00000000344C: D3D7004C 1D320D3E
	v_mfma_i32_16x16x32_i8 v[80:83], a[56:57], a[8:9], v[80:83]// 000000003454: D3D70050 1D421138
	v_mfma_i32_16x16x32_i8 v[80:83], a[58:59], a[10:11], v[80:83]// 00000000345C: D3D70050 1D42153A
	buffer_load_dwordx4 a[124:127], v44, s[84:87], 0 offen offset:1024// 000000003464: E05C1400 80957C2C
	v_mfma_i32_16x16x32_i8 v[80:83], a[60:61], a[12:13], v[80:83]// 00000000346C: D3D70050 1D42193C
	v_mfma_i32_16x16x32_i8 v[80:83], a[62:63], a[14:15], v[80:83]// 000000003474: D3D70050 1D421D3E
	s_waitcnt vmcnt(14)                                        // 00000000347C: BF8C0F7E
	v_mfma_i32_16x16x32_i8 v[84:87], a[64:65], a[0:1], v[84:87]// 000000003480: D3D70054 1D520140
	v_mfma_i32_16x16x32_i8 v[84:87], a[66:67], a[2:3], v[84:87]// 000000003488: D3D70054 1D520542
	buffer_load_dwordx4 a[128:131], v45, s[84:87], 0 offen     // 000000003490: E05C1000 8095802D
	v_mfma_i32_16x16x32_i8 v[84:87], a[68:69], a[4:5], v[84:87]// 000000003498: D3D70054 1D520944
	v_mfma_i32_16x16x32_i8 v[84:87], a[70:71], a[6:7], v[84:87]// 0000000034A0: D3D70054 1D520D46
	v_mfma_i32_16x16x32_i8 v[88:91], a[64:65], a[8:9], v[88:91]// 0000000034A8: D3D70058 1D621140
	v_mfma_i32_16x16x32_i8 v[88:91], a[66:67], a[10:11], v[88:91]// 0000000034B0: D3D70058 1D621542
	buffer_load_dwordx4 a[132:135], v45, s[84:87], 0 offen offset:1024// 0000000034B8: E05C1400 8095842D
	v_mfma_i32_16x16x32_i8 v[88:91], a[68:69], a[12:13], v[88:91]// 0000000034C0: D3D70058 1D621944
	v_mfma_i32_16x16x32_i8 v[88:91], a[70:71], a[14:15], v[88:91]// 0000000034C8: D3D70058 1D621D46
	s_waitcnt vmcnt(14)                                        // 0000000034D0: BF8C0F7E
	v_mfma_i32_16x16x32_i8 v[92:95], a[72:73], a[0:1], v[92:95]// 0000000034D4: D3D7005C 1D720148
	v_mfma_i32_16x16x32_i8 v[92:95], a[74:75], a[2:3], v[92:95]// 0000000034DC: D3D7005C 1D72054A
	buffer_load_dwordx4 a[136:139], v46, s[84:87], 0 offen     // 0000000034E4: E05C1000 8095882E
	v_mfma_i32_16x16x32_i8 v[92:95], a[76:77], a[4:5], v[92:95]// 0000000034EC: D3D7005C 1D72094C
	v_mfma_i32_16x16x32_i8 v[92:95], a[78:79], a[6:7], v[92:95]// 0000000034F4: D3D7005C 1D720D4E
	v_mfma_i32_16x16x32_i8 v[96:99], a[72:73], a[8:9], v[96:99]// 0000000034FC: D3D70060 1D821148
	v_mfma_i32_16x16x32_i8 v[96:99], a[74:75], a[10:11], v[96:99]// 000000003504: D3D70060 1D82154A
	buffer_load_dwordx4 a[140:143], v46, s[84:87], 0 offen offset:1024// 00000000350C: E05C1400 80958C2E
	v_mfma_i32_16x16x32_i8 v[96:99], a[76:77], a[12:13], v[96:99]// 000000003514: D3D70060 1D82194C
	v_mfma_i32_16x16x32_i8 v[96:99], a[78:79], a[14:15], v[96:99]// 00000000351C: D3D70060 1D821D4E
	s_waitcnt vmcnt(14)                                        // 000000003524: BF8C0F7E
	v_mfma_i32_16x16x32_i8 v[100:103], a[80:81], a[0:1], v[100:103]// 000000003528: D3D70064 1D920150
	v_mfma_i32_16x16x32_i8 v[100:103], a[82:83], a[2:3], v[100:103]// 000000003530: D3D70064 1D920552
	buffer_load_dwordx4 a[144:147], v47, s[84:87], 0 offen     // 000000003538: E05C1000 8095902F
	v_mfma_i32_16x16x32_i8 v[100:103], a[84:85], a[4:5], v[100:103]// 000000003540: D3D70064 1D920954
	v_mfma_i32_16x16x32_i8 v[100:103], a[86:87], a[6:7], v[100:103]// 000000003548: D3D70064 1D920D56
	v_mfma_i32_16x16x32_i8 v[104:107], a[80:81], a[8:9], v[104:107]// 000000003550: D3D70068 1DA21150
	v_mfma_i32_16x16x32_i8 v[104:107], a[82:83], a[10:11], v[104:107]// 000000003558: D3D70068 1DA21552
	buffer_load_dwordx4 a[148:151], v47, s[84:87], 0 offen offset:1024// 000000003560: E05C1400 8095942F
	v_mfma_i32_16x16x32_i8 v[104:107], a[84:85], a[12:13], v[104:107]// 000000003568: D3D70068 1DA21954
	v_mfma_i32_16x16x32_i8 v[104:107], a[86:87], a[14:15], v[104:107]// 000000003570: D3D70068 1DA21D56
	s_waitcnt vmcnt(14)                                        // 000000003578: BF8C0F7E
	v_mfma_i32_16x16x32_i8 v[108:111], a[88:89], a[0:1], v[108:111]// 00000000357C: D3D7006C 1DB20158
	v_mfma_i32_16x16x32_i8 v[108:111], a[90:91], a[2:3], v[108:111]// 000000003584: D3D7006C 1DB2055A
	buffer_load_dwordx4 a[152:155], v48, s[84:87], 0 offen     // 00000000358C: E05C1000 80959830
	v_mfma_i32_16x16x32_i8 v[108:111], a[92:93], a[4:5], v[108:111]// 000000003594: D3D7006C 1DB2095C
	v_mfma_i32_16x16x32_i8 v[108:111], a[94:95], a[6:7], v[108:111]// 00000000359C: D3D7006C 1DB20D5E
	v_mfma_i32_16x16x32_i8 v[112:115], a[88:89], a[8:9], v[112:115]// 0000000035A4: D3D70070 1DC21158
	v_mfma_i32_16x16x32_i8 v[112:115], a[90:91], a[10:11], v[112:115]// 0000000035AC: D3D70070 1DC2155A
	buffer_load_dwordx4 a[156:159], v48, s[84:87], 0 offen offset:1024// 0000000035B4: E05C1400 80959C30
	buffer_load_dword v37, s[20:23], 0 offen lds               // 0000000035BC: E0511000 80050025
	s_add_u32 m0, 0x100, s48                                   // 0000000035C4: 807C30FF 00000100
	s_add_u32 s60, 0x80, s80                                   // 0000000035CC: 803C50FF 00000080
	s_cmp_lt_u32 s60, s81                                      // 0000000035D4: BF0A513C
	s_cselect_b32 s83, s83, 0                                  // 0000000035D8: 85538053
	v_mfma_i32_16x16x32_i8 v[112:115], a[92:93], a[12:13], v[112:115]// 0000000035DC: D3D70070 1DC2195C
	v_mfma_i32_16x16x32_i8 v[112:115], a[94:95], a[14:15], v[112:115]// 0000000035E4: D3D70070 1DC21D5E
	buffer_load_dword v38, s[20:23], 0 offen lds               // 0000000035EC: E0511000 80050026
	s_add_u32 m0, 0x200, s48                                   // 0000000035F4: 807C30FF 00000200
	buffer_load_dword v39, s[20:23], 0 offen lds               // 0000000035FC: E0511000 80050027
	s_add_u32 m0, 0x300, s48                                   // 000000003604: 807C30FF 00000300
	buffer_load_dword v40, s[20:23], 0 offen lds               // 00000000360C: E0511000 80050028
	s_add_u32 m0, 0, s49                                       // 000000003614: 807C3180
	s_waitcnt vmcnt(4)                                         // 000000003618: BF8C0F74
	v_mfma_i32_16x16x32_i8 v[116:119], a[96:97], a[0:1], v[116:119]// 00000000361C: D3D70074 1DD20160
	v_mfma_i32_16x16x32_i8 v[116:119], a[98:99], a[2:3], v[116:119]// 000000003624: D3D70074 1DD20562
	buffer_load_dwordx4 a[32:35], v41, s[24:27], 0 offen       // 00000000362C: E05C1000 80862029
	v_mfma_i32_16x16x32_i8 v[116:119], a[100:101], a[4:5], v[116:119]// 000000003634: D3D70074 1DD20964
	v_mfma_i32_16x16x32_i8 v[116:119], a[102:103], a[6:7], v[116:119]// 00000000363C: D3D70074 1DD20D66
	ds_read_b128 a[16:19], v2 offset:4224                      // 000000003644: DBFE1080 10000002
	ds_read_b128 a[20:23], v2 offset:4288                      // 00000000364C: DBFE10C0 14000002
	v_mfma_i32_16x16x32_i8 v[124:127], a[104:105], a[0:1], v[124:127]// 000000003654: D3D7007C 1DF20168
	v_mfma_i32_16x16x32_i8 v[124:127], a[106:107], a[2:3], v[124:127]// 00000000365C: D3D7007C 1DF2056A
	buffer_load_dwordx4 a[36:39], v41, s[24:27], 0 offen offset:1024// 000000003664: E05C1400 80862429
	v_mfma_i32_16x16x32_i8 v[124:127], a[108:109], a[4:5], v[124:127]// 00000000366C: D3D7007C 1DF2096C
	v_mfma_i32_16x16x32_i8 v[124:127], a[110:111], a[6:7], v[124:127]// 000000003674: D3D7007C 1DF20D6E
	ds_read_b128 a[24:27], v2 offset:4736                      // 00000000367C: DBFE1280 18000002
	ds_read_b128 a[28:31], v2 offset:4800                      // 000000003684: DBFE12C0 1C000002
	v_mfma_i32_16x16x32_i8 v[132:135], a[112:113], a[0:1], v[132:135]// 00000000368C: D3D70084 1E120170
	v_mfma_i32_16x16x32_i8 v[132:135], a[114:115], a[2:3], v[132:135]// 000000003694: D3D70084 1E120572
	buffer_load_dwordx4 a[40:43], v42, s[24:27], 0 offen       // 00000000369C: E05C1000 8086282A
	v_mfma_i32_16x16x32_i8 v[132:135], a[116:117], a[4:5], v[132:135]// 0000000036A4: D3D70084 1E120974
	v_mfma_i32_16x16x32_i8 v[132:135], a[118:119], a[6:7], v[132:135]// 0000000036AC: D3D70084 1E120D76
	v_mfma_i32_16x16x32_i8 v[140:143], a[120:121], a[0:1], v[140:143]// 0000000036B4: D3D7008C 1E320178
	v_mfma_i32_16x16x32_i8 v[140:143], a[122:123], a[2:3], v[140:143]// 0000000036BC: D3D7008C 1E32057A
	buffer_load_dwordx4 a[44:47], v42, s[24:27], 0 offen offset:1024// 0000000036C4: E05C1400 80862C2A
	v_mfma_i32_16x16x32_i8 v[140:143], a[124:125], a[4:5], v[140:143]// 0000000036CC: D3D7008C 1E32097C
	v_mfma_i32_16x16x32_i8 v[140:143], a[126:127], a[6:7], v[140:143]// 0000000036D4: D3D7008C 1E320D7E
	v_mfma_i32_16x16x32_i8 v[148:151], a[128:129], a[0:1], v[148:151]// 0000000036DC: D3D70094 1E520180
	v_mfma_i32_16x16x32_i8 v[148:151], a[130:131], a[2:3], v[148:151]// 0000000036E4: D3D70094 1E520582
	buffer_load_dwordx4 a[48:51], v43, s[24:27], 0 offen       // 0000000036EC: E05C1000 8086302B
	v_mfma_i32_16x16x32_i8 v[148:151], a[132:133], a[4:5], v[148:151]// 0000000036F4: D3D70094 1E520984
	v_mfma_i32_16x16x32_i8 v[148:151], a[134:135], a[6:7], v[148:151]// 0000000036FC: D3D70094 1E520D86
	v_mfma_i32_16x16x32_i8 v[156:159], a[136:137], a[0:1], v[156:159]// 000000003704: D3D7009C 1E720188
	v_mfma_i32_16x16x32_i8 v[156:159], a[138:139], a[2:3], v[156:159]// 00000000370C: D3D7009C 1E72058A
	buffer_load_dwordx4 a[52:55], v43, s[24:27], 0 offen offset:1024// 000000003714: E05C1400 8086342B
	v_mfma_i32_16x16x32_i8 v[156:159], a[140:141], a[4:5], v[156:159]// 00000000371C: D3D7009C 1E72098C
	v_mfma_i32_16x16x32_i8 v[156:159], a[142:143], a[6:7], v[156:159]// 000000003724: D3D7009C 1E720D8E
	v_mfma_i32_16x16x32_i8 v[164:167], a[144:145], a[0:1], v[164:167]// 00000000372C: D3D700A4 1E920190
	v_mfma_i32_16x16x32_i8 v[164:167], a[146:147], a[2:3], v[164:167]// 000000003734: D3D700A4 1E920592
	buffer_load_dwordx4 a[56:59], v44, s[24:27], 0 offen       // 00000000373C: E05C1000 8086382C
	v_mfma_i32_16x16x32_i8 v[164:167], a[148:149], a[4:5], v[164:167]// 000000003744: D3D700A4 1E920994
	v_mfma_i32_16x16x32_i8 v[164:167], a[150:151], a[6:7], v[164:167]// 00000000374C: D3D700A4 1E920D96
	v_mfma_i32_16x16x32_i8 v[172:175], a[152:153], a[0:1], v[172:175]// 000000003754: D3D700AC 1EB20198
	v_mfma_i32_16x16x32_i8 v[172:175], a[154:155], a[2:3], v[172:175]// 00000000375C: D3D700AC 1EB2059A
	buffer_load_dwordx4 a[60:63], v44, s[24:27], 0 offen offset:1024// 000000003764: E05C1400 80863C2C
	v_mfma_i32_16x16x32_i8 v[172:175], a[156:157], a[4:5], v[172:175]// 00000000376C: D3D700AC 1EB2099C
	v_mfma_i32_16x16x32_i8 v[172:175], a[158:159], a[6:7], v[172:175]// 000000003774: D3D700AC 1EB20D9E
	v_mfma_i32_16x16x32_i8 v[120:123], a[96:97], a[8:9], v[120:123]// 00000000377C: D3D70078 1DE21160
	v_mfma_i32_16x16x32_i8 v[120:123], a[98:99], a[10:11], v[120:123]// 000000003784: D3D70078 1DE21562
	buffer_load_dwordx4 a[64:67], v45, s[24:27], 0 offen       // 00000000378C: E05C1000 8086402D
	v_mfma_i32_16x16x32_i8 v[120:123], a[100:101], a[12:13], v[120:123]// 000000003794: D3D70078 1DE21964
	v_mfma_i32_16x16x32_i8 v[120:123], a[102:103], a[14:15], v[120:123]// 00000000379C: D3D70078 1DE21D66
	v_mfma_i32_16x16x32_i8 v[128:131], a[104:105], a[8:9], v[128:131]// 0000000037A4: D3D70080 1E021168
	v_mfma_i32_16x16x32_i8 v[128:131], a[106:107], a[10:11], v[128:131]// 0000000037AC: D3D70080 1E02156A
	buffer_load_dwordx4 a[68:71], v45, s[24:27], 0 offen offset:1024// 0000000037B4: E05C1400 8086442D
	v_mfma_i32_16x16x32_i8 v[128:131], a[108:109], a[12:13], v[128:131]// 0000000037BC: D3D70080 1E02196C
	v_mfma_i32_16x16x32_i8 v[128:131], a[110:111], a[14:15], v[128:131]// 0000000037C4: D3D70080 1E021D6E
	v_mfma_i32_16x16x32_i8 v[136:139], a[112:113], a[8:9], v[136:139]// 0000000037CC: D3D70088 1E221170
	v_mfma_i32_16x16x32_i8 v[136:139], a[114:115], a[10:11], v[136:139]// 0000000037D4: D3D70088 1E221572
	buffer_load_dwordx4 a[72:75], v46, s[24:27], 0 offen       // 0000000037DC: E05C1000 8086482E
	v_mfma_i32_16x16x32_i8 v[136:139], a[116:117], a[12:13], v[136:139]// 0000000037E4: D3D70088 1E221974
	v_mfma_i32_16x16x32_i8 v[136:139], a[118:119], a[14:15], v[136:139]// 0000000037EC: D3D70088 1E221D76
	v_mfma_i32_16x16x32_i8 v[144:147], a[120:121], a[8:9], v[144:147]// 0000000037F4: D3D70090 1E421178
	v_mfma_i32_16x16x32_i8 v[144:147], a[122:123], a[10:11], v[144:147]// 0000000037FC: D3D70090 1E42157A
	buffer_load_dwordx4 a[76:79], v46, s[24:27], 0 offen offset:1024// 000000003804: E05C1400 80864C2E
	v_mfma_i32_16x16x32_i8 v[144:147], a[124:125], a[12:13], v[144:147]// 00000000380C: D3D70090 1E42197C
	v_mfma_i32_16x16x32_i8 v[144:147], a[126:127], a[14:15], v[144:147]// 000000003814: D3D70090 1E421D7E
	v_mfma_i32_16x16x32_i8 v[152:155], a[128:129], a[8:9], v[152:155]// 00000000381C: D3D70098 1E621180
	v_mfma_i32_16x16x32_i8 v[152:155], a[130:131], a[10:11], v[152:155]// 000000003824: D3D70098 1E621582
	buffer_load_dwordx4 a[80:83], v47, s[24:27], 0 offen       // 00000000382C: E05C1000 8086502F
	v_mfma_i32_16x16x32_i8 v[152:155], a[132:133], a[12:13], v[152:155]// 000000003834: D3D70098 1E621984
	v_mfma_i32_16x16x32_i8 v[152:155], a[134:135], a[14:15], v[152:155]// 00000000383C: D3D70098 1E621D86
	v_mfma_i32_16x16x32_i8 v[160:163], a[136:137], a[8:9], v[160:163]// 000000003844: D3D700A0 1E821188
	v_mfma_i32_16x16x32_i8 v[160:163], a[138:139], a[10:11], v[160:163]// 00000000384C: D3D700A0 1E82158A
	buffer_load_dwordx4 a[84:87], v47, s[24:27], 0 offen offset:1024// 000000003854: E05C1400 8086542F
	v_mfma_i32_16x16x32_i8 v[160:163], a[140:141], a[12:13], v[160:163]// 00000000385C: D3D700A0 1E82198C
	v_mfma_i32_16x16x32_i8 v[160:163], a[142:143], a[14:15], v[160:163]// 000000003864: D3D700A0 1E821D8E
	v_mfma_i32_16x16x32_i8 v[168:171], a[144:145], a[8:9], v[168:171]// 00000000386C: D3D700A8 1EA21190
	v_mfma_i32_16x16x32_i8 v[168:171], a[146:147], a[10:11], v[168:171]// 000000003874: D3D700A8 1EA21592
	buffer_load_dwordx4 a[88:91], v48, s[24:27], 0 offen       // 00000000387C: E05C1000 80865830
	v_mfma_i32_16x16x32_i8 v[168:171], a[148:149], a[12:13], v[168:171]// 000000003884: D3D700A8 1EA21994
	s_add_u32 s60, 0x180, s80                                  // 00000000388C: 803C50FF 00000180
	s_cmp_lt_u32 s60, s81                                      // 000000003894: BF0A513C
	s_cselect_b32 s57, s57, 0                                  // 000000003898: 85398039
	v_mfma_i32_16x16x32_i8 v[168:171], a[150:151], a[14:15], v[168:171]// 00000000389C: D3D700A8 1EA21D96
	s_add_u32 s60, 0x100, s80                                  // 0000000038A4: 803C50FF 00000100
	s_cmp_lt_u32 s60, s81                                      // 0000000038AC: BF0A513C
	s_cselect_b32 s58, s58, 0                                  // 0000000038B0: 853A803A
	v_mfma_i32_16x16x32_i8 v[176:179], a[152:153], a[8:9], v[176:179]// 0000000038B4: D3D700B0 1EC21198
	v_mfma_i32_16x16x32_i8 v[176:179], a[154:155], a[10:11], v[176:179]// 0000000038BC: D3D700B0 1EC2159A
	buffer_load_dwordx4 a[92:95], v48, s[24:27], 0 offen offset:1024// 0000000038C4: E05C1400 80865C30
	s_add_u32 s20, s57, s20                                    // 0000000038CC: 80141439
	s_addc_u32 s21, 0, s21                                     // 0000000038D0: 82151580
	v_mfma_i32_16x16x32_i8 v[176:179], a[156:157], a[12:13], v[176:179]// 0000000038D4: D3D700B0 1EC2199C
	s_add_u32 s84, s83, s84                                    // 0000000038DC: 80545453
	s_addc_u32 s85, 0, s85                                     // 0000000038E0: 82555580
	v_mfma_i32_16x16x32_i8 v[176:179], a[158:159], a[14:15], v[176:179]// 0000000038E4: D3D700B0 1EC21D9E
	s_add_u32 s24, s58, s24                                    // 0000000038EC: 8018183A
	s_addc_u32 s25, 0, s25                                     // 0000000038F0: 82191980
	s_addk_i32 s80, 0x80                                       // 0000000038F4: B7500080
	s_cmp_lt_i32 s80, s81                                      // 0000000038F8: BF045150
	s_cbranch_scc0 label_0537                                  // 0000000038FC: BF840177
	s_waitcnt vmcnt(14) lgkmcnt(0)                             // 000000003900: BF8C007E
	s_barrier                                                  // 000000003904: BF8A0000
	v_mfma_i32_16x16x32_i8 v[52:55], a[32:33], a[16:17], v[52:55]// 000000003908: D3D70034 1CD22120
	v_mfma_i32_16x16x32_i8 v[52:55], a[34:35], a[18:19], v[52:55]// 000000003910: D3D70034 1CD22522
	buffer_load_dwordx4 a[96:99], v41, s[84:87], 0 offen       // 000000003918: E05C1000 80956029
	v_mfma_i32_16x16x32_i8 v[52:55], a[36:37], a[20:21], v[52:55]// 000000003920: D3D70034 1CD22924
	v_mfma_i32_16x16x32_i8 v[52:55], a[38:39], a[22:23], v[52:55]// 000000003928: D3D70034 1CD22D26
	v_mfma_i32_16x16x32_i8 v[56:59], a[32:33], a[24:25], v[56:59]// 000000003930: D3D70038 1CE23120
	v_mfma_i32_16x16x32_i8 v[56:59], a[34:35], a[26:27], v[56:59]// 000000003938: D3D70038 1CE23522
	buffer_load_dwordx4 a[100:103], v41, s[84:87], 0 offen offset:1024// 000000003940: E05C1400 80956429
	v_mfma_i32_16x16x32_i8 v[56:59], a[36:37], a[28:29], v[56:59]// 000000003948: D3D70038 1CE23924
	v_mfma_i32_16x16x32_i8 v[56:59], a[38:39], a[30:31], v[56:59]// 000000003950: D3D70038 1CE23D26
	s_waitcnt vmcnt(14)                                        // 000000003958: BF8C0F7E
	v_mfma_i32_16x16x32_i8 v[60:63], a[40:41], a[16:17], v[60:63]// 00000000395C: D3D7003C 1CF22128
	v_mfma_i32_16x16x32_i8 v[60:63], a[42:43], a[18:19], v[60:63]// 000000003964: D3D7003C 1CF2252A
	buffer_load_dwordx4 a[104:107], v42, s[84:87], 0 offen     // 00000000396C: E05C1000 8095682A
	v_mfma_i32_16x16x32_i8 v[60:63], a[44:45], a[20:21], v[60:63]// 000000003974: D3D7003C 1CF2292C
	v_mfma_i32_16x16x32_i8 v[60:63], a[46:47], a[22:23], v[60:63]// 00000000397C: D3D7003C 1CF22D2E
	v_mfma_i32_16x16x32_i8 v[64:67], a[40:41], a[24:25], v[64:67]// 000000003984: D3D70040 1D023128
	v_mfma_i32_16x16x32_i8 v[64:67], a[42:43], a[26:27], v[64:67]// 00000000398C: D3D70040 1D02352A
	buffer_load_dwordx4 a[108:111], v42, s[84:87], 0 offen offset:1024// 000000003994: E05C1400 80956C2A
	v_mfma_i32_16x16x32_i8 v[64:67], a[44:45], a[28:29], v[64:67]// 00000000399C: D3D70040 1D02392C
	v_mfma_i32_16x16x32_i8 v[64:67], a[46:47], a[30:31], v[64:67]// 0000000039A4: D3D70040 1D023D2E
	s_waitcnt vmcnt(14)                                        // 0000000039AC: BF8C0F7E
	v_mfma_i32_16x16x32_i8 v[68:71], a[48:49], a[16:17], v[68:71]// 0000000039B0: D3D70044 1D122130
	v_mfma_i32_16x16x32_i8 v[68:71], a[50:51], a[18:19], v[68:71]// 0000000039B8: D3D70044 1D122532
	buffer_load_dwordx4 a[112:115], v43, s[84:87], 0 offen     // 0000000039C0: E05C1000 8095702B
	v_mfma_i32_16x16x32_i8 v[68:71], a[52:53], a[20:21], v[68:71]// 0000000039C8: D3D70044 1D122934
	v_mfma_i32_16x16x32_i8 v[68:71], a[54:55], a[22:23], v[68:71]// 0000000039D0: D3D70044 1D122D36
	v_mfma_i32_16x16x32_i8 v[72:75], a[48:49], a[24:25], v[72:75]// 0000000039D8: D3D70048 1D223130
	v_mfma_i32_16x16x32_i8 v[72:75], a[50:51], a[26:27], v[72:75]// 0000000039E0: D3D70048 1D223532
	buffer_load_dwordx4 a[116:119], v43, s[84:87], 0 offen offset:1024// 0000000039E8: E05C1400 8095742B
	v_mfma_i32_16x16x32_i8 v[72:75], a[52:53], a[28:29], v[72:75]// 0000000039F0: D3D70048 1D223934
	v_mfma_i32_16x16x32_i8 v[72:75], a[54:55], a[30:31], v[72:75]// 0000000039F8: D3D70048 1D223D36
	s_waitcnt vmcnt(14)                                        // 000000003A00: BF8C0F7E
	v_mfma_i32_16x16x32_i8 v[76:79], a[56:57], a[16:17], v[76:79]// 000000003A04: D3D7004C 1D322138
	v_mfma_i32_16x16x32_i8 v[76:79], a[58:59], a[18:19], v[76:79]// 000000003A0C: D3D7004C 1D32253A
	buffer_load_dwordx4 a[120:123], v44, s[84:87], 0 offen     // 000000003A14: E05C1000 8095782C
	v_mfma_i32_16x16x32_i8 v[76:79], a[60:61], a[20:21], v[76:79]// 000000003A1C: D3D7004C 1D32293C
	v_mfma_i32_16x16x32_i8 v[76:79], a[62:63], a[22:23], v[76:79]// 000000003A24: D3D7004C 1D322D3E
	v_mfma_i32_16x16x32_i8 v[80:83], a[56:57], a[24:25], v[80:83]// 000000003A2C: D3D70050 1D423138
	v_mfma_i32_16x16x32_i8 v[80:83], a[58:59], a[26:27], v[80:83]// 000000003A34: D3D70050 1D42353A
	buffer_load_dwordx4 a[124:127], v44, s[84:87], 0 offen offset:1024// 000000003A3C: E05C1400 80957C2C
	v_mfma_i32_16x16x32_i8 v[80:83], a[60:61], a[28:29], v[80:83]// 000000003A44: D3D70050 1D42393C
	v_mfma_i32_16x16x32_i8 v[80:83], a[62:63], a[30:31], v[80:83]// 000000003A4C: D3D70050 1D423D3E
	s_waitcnt vmcnt(14)                                        // 000000003A54: BF8C0F7E
	v_mfma_i32_16x16x32_i8 v[84:87], a[64:65], a[16:17], v[84:87]// 000000003A58: D3D70054 1D522140
	v_mfma_i32_16x16x32_i8 v[84:87], a[66:67], a[18:19], v[84:87]// 000000003A60: D3D70054 1D522542
	buffer_load_dwordx4 a[128:131], v45, s[84:87], 0 offen     // 000000003A68: E05C1000 8095802D
	v_mfma_i32_16x16x32_i8 v[84:87], a[68:69], a[20:21], v[84:87]// 000000003A70: D3D70054 1D522944
	v_mfma_i32_16x16x32_i8 v[84:87], a[70:71], a[22:23], v[84:87]// 000000003A78: D3D70054 1D522D46
	v_mfma_i32_16x16x32_i8 v[88:91], a[64:65], a[24:25], v[88:91]// 000000003A80: D3D70058 1D623140
	v_mfma_i32_16x16x32_i8 v[88:91], a[66:67], a[26:27], v[88:91]// 000000003A88: D3D70058 1D623542
	buffer_load_dwordx4 a[132:135], v45, s[84:87], 0 offen offset:1024// 000000003A90: E05C1400 8095842D
	v_mfma_i32_16x16x32_i8 v[88:91], a[68:69], a[28:29], v[88:91]// 000000003A98: D3D70058 1D623944
	v_mfma_i32_16x16x32_i8 v[88:91], a[70:71], a[30:31], v[88:91]// 000000003AA0: D3D70058 1D623D46
	s_waitcnt vmcnt(14)                                        // 000000003AA8: BF8C0F7E
	v_mfma_i32_16x16x32_i8 v[92:95], a[72:73], a[16:17], v[92:95]// 000000003AAC: D3D7005C 1D722148
	v_mfma_i32_16x16x32_i8 v[92:95], a[74:75], a[18:19], v[92:95]// 000000003AB4: D3D7005C 1D72254A
	buffer_load_dwordx4 a[136:139], v46, s[84:87], 0 offen     // 000000003ABC: E05C1000 8095882E
	v_mfma_i32_16x16x32_i8 v[92:95], a[76:77], a[20:21], v[92:95]// 000000003AC4: D3D7005C 1D72294C
	v_mfma_i32_16x16x32_i8 v[92:95], a[78:79], a[22:23], v[92:95]// 000000003ACC: D3D7005C 1D722D4E
	v_mfma_i32_16x16x32_i8 v[96:99], a[72:73], a[24:25], v[96:99]// 000000003AD4: D3D70060 1D823148
	v_mfma_i32_16x16x32_i8 v[96:99], a[74:75], a[26:27], v[96:99]// 000000003ADC: D3D70060 1D82354A
	buffer_load_dwordx4 a[140:143], v46, s[84:87], 0 offen offset:1024// 000000003AE4: E05C1400 80958C2E
	v_mfma_i32_16x16x32_i8 v[96:99], a[76:77], a[28:29], v[96:99]// 000000003AEC: D3D70060 1D82394C
	v_mfma_i32_16x16x32_i8 v[96:99], a[78:79], a[30:31], v[96:99]// 000000003AF4: D3D70060 1D823D4E
	s_waitcnt vmcnt(14)                                        // 000000003AFC: BF8C0F7E
	v_mfma_i32_16x16x32_i8 v[100:103], a[80:81], a[16:17], v[100:103]// 000000003B00: D3D70064 1D922150
	v_mfma_i32_16x16x32_i8 v[100:103], a[82:83], a[18:19], v[100:103]// 000000003B08: D3D70064 1D922552
	buffer_load_dwordx4 a[144:147], v47, s[84:87], 0 offen     // 000000003B10: E05C1000 8095902F
	v_mfma_i32_16x16x32_i8 v[100:103], a[84:85], a[20:21], v[100:103]// 000000003B18: D3D70064 1D922954
	v_mfma_i32_16x16x32_i8 v[100:103], a[86:87], a[22:23], v[100:103]// 000000003B20: D3D70064 1D922D56
	v_mfma_i32_16x16x32_i8 v[104:107], a[80:81], a[24:25], v[104:107]// 000000003B28: D3D70068 1DA23150
	v_mfma_i32_16x16x32_i8 v[104:107], a[82:83], a[26:27], v[104:107]// 000000003B30: D3D70068 1DA23552
	buffer_load_dwordx4 a[148:151], v47, s[84:87], 0 offen offset:1024// 000000003B38: E05C1400 8095942F
	v_mfma_i32_16x16x32_i8 v[104:107], a[84:85], a[28:29], v[104:107]// 000000003B40: D3D70068 1DA23954
	v_mfma_i32_16x16x32_i8 v[104:107], a[86:87], a[30:31], v[104:107]// 000000003B48: D3D70068 1DA23D56
	s_waitcnt vmcnt(14)                                        // 000000003B50: BF8C0F7E
	v_mfma_i32_16x16x32_i8 v[108:111], a[88:89], a[16:17], v[108:111]// 000000003B54: D3D7006C 1DB22158
	v_mfma_i32_16x16x32_i8 v[108:111], a[90:91], a[18:19], v[108:111]// 000000003B5C: D3D7006C 1DB2255A
	buffer_load_dwordx4 a[152:155], v48, s[84:87], 0 offen     // 000000003B64: E05C1000 80959830
	v_mfma_i32_16x16x32_i8 v[108:111], a[92:93], a[20:21], v[108:111]// 000000003B6C: D3D7006C 1DB2295C
	v_mfma_i32_16x16x32_i8 v[108:111], a[94:95], a[22:23], v[108:111]// 000000003B74: D3D7006C 1DB22D5E
	v_mfma_i32_16x16x32_i8 v[112:115], a[88:89], a[24:25], v[112:115]// 000000003B7C: D3D70070 1DC23158
	v_mfma_i32_16x16x32_i8 v[112:115], a[90:91], a[26:27], v[112:115]// 000000003B84: D3D70070 1DC2355A
	buffer_load_dwordx4 a[156:159], v48, s[84:87], 0 offen offset:1024// 000000003B8C: E05C1400 80959C30
	buffer_load_dword v37, s[20:23], 0 offen lds               // 000000003B94: E0511000 80050025
	s_add_u32 m0, 0x100, s49                                   // 000000003B9C: 807C31FF 00000100
	s_add_u32 s60, 0x80, s80                                   // 000000003BA4: 803C50FF 00000080
	s_cmp_lt_u32 s60, s81                                      // 000000003BAC: BF0A513C
	s_cselect_b32 s83, s83, 0                                  // 000000003BB0: 85538053
	v_mfma_i32_16x16x32_i8 v[112:115], a[92:93], a[28:29], v[112:115]// 000000003BB4: D3D70070 1DC2395C
	v_mfma_i32_16x16x32_i8 v[112:115], a[94:95], a[30:31], v[112:115]// 000000003BBC: D3D70070 1DC23D5E
	buffer_load_dword v38, s[20:23], 0 offen lds               // 000000003BC4: E0511000 80050026
	s_add_u32 m0, 0x200, s49                                   // 000000003BCC: 807C31FF 00000200
	buffer_load_dword v39, s[20:23], 0 offen lds               // 000000003BD4: E0511000 80050027
	s_add_u32 m0, 0x300, s49                                   // 000000003BDC: 807C31FF 00000300
	buffer_load_dword v40, s[20:23], 0 offen lds               // 000000003BE4: E0511000 80050028
	s_add_u32 m0, 0, s48                                       // 000000003BEC: 807C3080
	s_waitcnt vmcnt(4)                                         // 000000003BF0: BF8C0F74
	v_mfma_i32_16x16x32_i8 v[116:119], a[96:97], a[16:17], v[116:119]// 000000003BF4: D3D70074 1DD22160
	v_mfma_i32_16x16x32_i8 v[116:119], a[98:99], a[18:19], v[116:119]// 000000003BFC: D3D70074 1DD22562
	buffer_load_dwordx4 a[32:35], v41, s[24:27], 0 offen       // 000000003C04: E05C1000 80862029
	v_mfma_i32_16x16x32_i8 v[116:119], a[100:101], a[20:21], v[116:119]// 000000003C0C: D3D70074 1DD22964
	v_mfma_i32_16x16x32_i8 v[116:119], a[102:103], a[22:23], v[116:119]// 000000003C14: D3D70074 1DD22D66
	ds_read_b128 a[0:3], v2                                    // 000000003C1C: DBFE0000 00000002
	ds_read_b128 a[4:7], v2 offset:64                          // 000000003C24: DBFE0040 04000002
	v_mfma_i32_16x16x32_i8 v[124:127], a[104:105], a[16:17], v[124:127]// 000000003C2C: D3D7007C 1DF22168
	v_mfma_i32_16x16x32_i8 v[124:127], a[106:107], a[18:19], v[124:127]// 000000003C34: D3D7007C 1DF2256A
	buffer_load_dwordx4 a[36:39], v41, s[24:27], 0 offen offset:1024// 000000003C3C: E05C1400 80862429
	v_mfma_i32_16x16x32_i8 v[124:127], a[108:109], a[20:21], v[124:127]// 000000003C44: D3D7007C 1DF2296C
	v_mfma_i32_16x16x32_i8 v[124:127], a[110:111], a[22:23], v[124:127]// 000000003C4C: D3D7007C 1DF22D6E
	ds_read_b128 a[8:11], v2 offset:512                        // 000000003C54: DBFE0200 08000002
	ds_read_b128 a[12:15], v2 offset:576                       // 000000003C5C: DBFE0240 0C000002
	v_mfma_i32_16x16x32_i8 v[132:135], a[112:113], a[16:17], v[132:135]// 000000003C64: D3D70084 1E122170
	v_mfma_i32_16x16x32_i8 v[132:135], a[114:115], a[18:19], v[132:135]// 000000003C6C: D3D70084 1E122572
	buffer_load_dwordx4 a[40:43], v42, s[24:27], 0 offen       // 000000003C74: E05C1000 8086282A
	v_mfma_i32_16x16x32_i8 v[132:135], a[116:117], a[20:21], v[132:135]// 000000003C7C: D3D70084 1E122974
	v_mfma_i32_16x16x32_i8 v[132:135], a[118:119], a[22:23], v[132:135]// 000000003C84: D3D70084 1E122D76
	v_mfma_i32_16x16x32_i8 v[140:143], a[120:121], a[16:17], v[140:143]// 000000003C8C: D3D7008C 1E322178
	v_mfma_i32_16x16x32_i8 v[140:143], a[122:123], a[18:19], v[140:143]// 000000003C94: D3D7008C 1E32257A
	buffer_load_dwordx4 a[44:47], v42, s[24:27], 0 offen offset:1024// 000000003C9C: E05C1400 80862C2A
	v_mfma_i32_16x16x32_i8 v[140:143], a[124:125], a[20:21], v[140:143]// 000000003CA4: D3D7008C 1E32297C
	v_mfma_i32_16x16x32_i8 v[140:143], a[126:127], a[22:23], v[140:143]// 000000003CAC: D3D7008C 1E322D7E
	v_mfma_i32_16x16x32_i8 v[148:151], a[128:129], a[16:17], v[148:151]// 000000003CB4: D3D70094 1E522180
	v_mfma_i32_16x16x32_i8 v[148:151], a[130:131], a[18:19], v[148:151]// 000000003CBC: D3D70094 1E522582
	buffer_load_dwordx4 a[48:51], v43, s[24:27], 0 offen       // 000000003CC4: E05C1000 8086302B
	v_mfma_i32_16x16x32_i8 v[148:151], a[132:133], a[20:21], v[148:151]// 000000003CCC: D3D70094 1E522984
	v_mfma_i32_16x16x32_i8 v[148:151], a[134:135], a[22:23], v[148:151]// 000000003CD4: D3D70094 1E522D86
	v_mfma_i32_16x16x32_i8 v[156:159], a[136:137], a[16:17], v[156:159]// 000000003CDC: D3D7009C 1E722188
	v_mfma_i32_16x16x32_i8 v[156:159], a[138:139], a[18:19], v[156:159]// 000000003CE4: D3D7009C 1E72258A
	buffer_load_dwordx4 a[52:55], v43, s[24:27], 0 offen offset:1024// 000000003CEC: E05C1400 8086342B
	v_mfma_i32_16x16x32_i8 v[156:159], a[140:141], a[20:21], v[156:159]// 000000003CF4: D3D7009C 1E72298C
	v_mfma_i32_16x16x32_i8 v[156:159], a[142:143], a[22:23], v[156:159]// 000000003CFC: D3D7009C 1E722D8E
	v_mfma_i32_16x16x32_i8 v[164:167], a[144:145], a[16:17], v[164:167]// 000000003D04: D3D700A4 1E922190
	v_mfma_i32_16x16x32_i8 v[164:167], a[146:147], a[18:19], v[164:167]// 000000003D0C: D3D700A4 1E922592
	buffer_load_dwordx4 a[56:59], v44, s[24:27], 0 offen       // 000000003D14: E05C1000 8086382C
	v_mfma_i32_16x16x32_i8 v[164:167], a[148:149], a[20:21], v[164:167]// 000000003D1C: D3D700A4 1E922994
	v_mfma_i32_16x16x32_i8 v[164:167], a[150:151], a[22:23], v[164:167]// 000000003D24: D3D700A4 1E922D96
	v_mfma_i32_16x16x32_i8 v[172:175], a[152:153], a[16:17], v[172:175]// 000000003D2C: D3D700AC 1EB22198
	v_mfma_i32_16x16x32_i8 v[172:175], a[154:155], a[18:19], v[172:175]// 000000003D34: D3D700AC 1EB2259A
	buffer_load_dwordx4 a[60:63], v44, s[24:27], 0 offen offset:1024// 000000003D3C: E05C1400 80863C2C
	v_mfma_i32_16x16x32_i8 v[172:175], a[156:157], a[20:21], v[172:175]// 000000003D44: D3D700AC 1EB2299C
	v_mfma_i32_16x16x32_i8 v[172:175], a[158:159], a[22:23], v[172:175]// 000000003D4C: D3D700AC 1EB22D9E
	v_mfma_i32_16x16x32_i8 v[120:123], a[96:97], a[24:25], v[120:123]// 000000003D54: D3D70078 1DE23160
	v_mfma_i32_16x16x32_i8 v[120:123], a[98:99], a[26:27], v[120:123]// 000000003D5C: D3D70078 1DE23562
	buffer_load_dwordx4 a[64:67], v45, s[24:27], 0 offen       // 000000003D64: E05C1000 8086402D
	v_mfma_i32_16x16x32_i8 v[120:123], a[100:101], a[28:29], v[120:123]// 000000003D6C: D3D70078 1DE23964
	v_mfma_i32_16x16x32_i8 v[120:123], a[102:103], a[30:31], v[120:123]// 000000003D74: D3D70078 1DE23D66
	v_mfma_i32_16x16x32_i8 v[128:131], a[104:105], a[24:25], v[128:131]// 000000003D7C: D3D70080 1E023168
	v_mfma_i32_16x16x32_i8 v[128:131], a[106:107], a[26:27], v[128:131]// 000000003D84: D3D70080 1E02356A
	buffer_load_dwordx4 a[68:71], v45, s[24:27], 0 offen offset:1024// 000000003D8C: E05C1400 8086442D
	v_mfma_i32_16x16x32_i8 v[128:131], a[108:109], a[28:29], v[128:131]// 000000003D94: D3D70080 1E02396C
	v_mfma_i32_16x16x32_i8 v[128:131], a[110:111], a[30:31], v[128:131]// 000000003D9C: D3D70080 1E023D6E
	v_mfma_i32_16x16x32_i8 v[136:139], a[112:113], a[24:25], v[136:139]// 000000003DA4: D3D70088 1E223170
	v_mfma_i32_16x16x32_i8 v[136:139], a[114:115], a[26:27], v[136:139]// 000000003DAC: D3D70088 1E223572
	buffer_load_dwordx4 a[72:75], v46, s[24:27], 0 offen       // 000000003DB4: E05C1000 8086482E
	v_mfma_i32_16x16x32_i8 v[136:139], a[116:117], a[28:29], v[136:139]// 000000003DBC: D3D70088 1E223974
	v_mfma_i32_16x16x32_i8 v[136:139], a[118:119], a[30:31], v[136:139]// 000000003DC4: D3D70088 1E223D76
	v_mfma_i32_16x16x32_i8 v[144:147], a[120:121], a[24:25], v[144:147]// 000000003DCC: D3D70090 1E423178
	v_mfma_i32_16x16x32_i8 v[144:147], a[122:123], a[26:27], v[144:147]// 000000003DD4: D3D70090 1E42357A
	buffer_load_dwordx4 a[76:79], v46, s[24:27], 0 offen offset:1024// 000000003DDC: E05C1400 80864C2E
	v_mfma_i32_16x16x32_i8 v[144:147], a[124:125], a[28:29], v[144:147]// 000000003DE4: D3D70090 1E42397C
	v_mfma_i32_16x16x32_i8 v[144:147], a[126:127], a[30:31], v[144:147]// 000000003DEC: D3D70090 1E423D7E
	v_mfma_i32_16x16x32_i8 v[152:155], a[128:129], a[24:25], v[152:155]// 000000003DF4: D3D70098 1E623180
	v_mfma_i32_16x16x32_i8 v[152:155], a[130:131], a[26:27], v[152:155]// 000000003DFC: D3D70098 1E623582
	buffer_load_dwordx4 a[80:83], v47, s[24:27], 0 offen       // 000000003E04: E05C1000 8086502F
	v_mfma_i32_16x16x32_i8 v[152:155], a[132:133], a[28:29], v[152:155]// 000000003E0C: D3D70098 1E623984
	v_mfma_i32_16x16x32_i8 v[152:155], a[134:135], a[30:31], v[152:155]// 000000003E14: D3D70098 1E623D86
	v_mfma_i32_16x16x32_i8 v[160:163], a[136:137], a[24:25], v[160:163]// 000000003E1C: D3D700A0 1E823188
	v_mfma_i32_16x16x32_i8 v[160:163], a[138:139], a[26:27], v[160:163]// 000000003E24: D3D700A0 1E82358A
	buffer_load_dwordx4 a[84:87], v47, s[24:27], 0 offen offset:1024// 000000003E2C: E05C1400 8086542F
	v_mfma_i32_16x16x32_i8 v[160:163], a[140:141], a[28:29], v[160:163]// 000000003E34: D3D700A0 1E82398C
	v_mfma_i32_16x16x32_i8 v[160:163], a[142:143], a[30:31], v[160:163]// 000000003E3C: D3D700A0 1E823D8E
	v_mfma_i32_16x16x32_i8 v[168:171], a[144:145], a[24:25], v[168:171]// 000000003E44: D3D700A8 1EA23190
	v_mfma_i32_16x16x32_i8 v[168:171], a[146:147], a[26:27], v[168:171]// 000000003E4C: D3D700A8 1EA23592
	buffer_load_dwordx4 a[88:91], v48, s[24:27], 0 offen       // 000000003E54: E05C1000 80865830
	v_mfma_i32_16x16x32_i8 v[168:171], a[148:149], a[28:29], v[168:171]// 000000003E5C: D3D700A8 1EA23994
	s_add_u32 s60, 0x180, s80                                  // 000000003E64: 803C50FF 00000180
	s_cmp_lt_u32 s60, s81                                      // 000000003E6C: BF0A513C
	s_cselect_b32 s57, s57, 0                                  // 000000003E70: 85398039
	v_mfma_i32_16x16x32_i8 v[168:171], a[150:151], a[30:31], v[168:171]// 000000003E74: D3D700A8 1EA23D96
	s_add_u32 s60, 0x100, s80                                  // 000000003E7C: 803C50FF 00000100
	s_cmp_lt_u32 s60, s81                                      // 000000003E84: BF0A513C
	s_cselect_b32 s58, s58, 0                                  // 000000003E88: 853A803A
	v_mfma_i32_16x16x32_i8 v[176:179], a[152:153], a[24:25], v[176:179]// 000000003E8C: D3D700B0 1EC23198
	v_mfma_i32_16x16x32_i8 v[176:179], a[154:155], a[26:27], v[176:179]// 000000003E94: D3D700B0 1EC2359A
	buffer_load_dwordx4 a[92:95], v48, s[24:27], 0 offen offset:1024// 000000003E9C: E05C1400 80865C30
	s_add_u32 s20, s57, s20                                    // 000000003EA4: 80141439
	s_addc_u32 s21, 0, s21                                     // 000000003EA8: 82151580
	v_mfma_i32_16x16x32_i8 v[176:179], a[156:157], a[28:29], v[176:179]// 000000003EAC: D3D700B0 1EC2399C
	s_add_u32 s84, s83, s84                                    // 000000003EB4: 80545453
	s_addc_u32 s85, 0, s85                                     // 000000003EB8: 82555580
	v_mfma_i32_16x16x32_i8 v[176:179], a[158:159], a[30:31], v[176:179]// 000000003EBC: D3D700B0 1EC23D9E
	s_add_u32 s24, s58, s24                                    // 000000003EC4: 8018183A
	s_addc_u32 s25, 0, s25                                     // 000000003EC8: 82191980
	s_addk_i32 s80, 0x80                                       // 000000003ECC: B7500080
	s_cmp_lt_i32 s80, s81                                      // 000000003ED0: BF045150
	s_cbranch_scc0 label_0537                                  // 000000003ED4: BF840001
	s_branch label_024A                                        // 000000003ED8: BF82FD13

0000000000003edc <label_0537>:
	v_cvt_f32_i32_e32 v52, v52                                 // 000000003EDC: 7E680B34
	v_cvt_f32_i32_e32 v53, v53                                 // 000000003EE0: 7E6A0B35
	v_cvt_f32_i32_e32 v54, v54                                 // 000000003EE4: 7E6C0B36
	v_cvt_f32_i32_e32 v55, v55                                 // 000000003EE8: 7E6E0B37
	v_mul_f32_dpp v52, v25, v52 row_newbcast:0 row_mask:0xf bank_mask:0xf// 000000003EEC: 0A6868FA FF015019
	v_mul_f32_dpp v53, v25, v53 row_newbcast:1 row_mask:0xf bank_mask:0xf// 000000003EF4: 0A6A6AFA FF015119
	v_mul_f32_dpp v54, v25, v54 row_newbcast:2 row_mask:0xf bank_mask:0xf// 000000003EFC: 0A6C6CFA FF015219
	v_mul_f32_dpp v55, v25, v55 row_newbcast:3 row_mask:0xf bank_mask:0xf// 000000003F04: 0A6E6EFA FF015319
	v_cvt_f32_i32_e32 v56, v56                                 // 000000003F0C: 7E700B38
	v_cvt_f32_i32_e32 v57, v57                                 // 000000003F10: 7E720B39
	v_cvt_f32_i32_e32 v58, v58                                 // 000000003F14: 7E740B3A
	v_cvt_f32_i32_e32 v59, v59                                 // 000000003F18: 7E760B3B
	v_mul_f32_dpp v56, v25, v56 row_newbcast:0 row_mask:0xf bank_mask:0xf// 000000003F1C: 0A7070FA FF015019
	v_mul_f32_dpp v57, v25, v57 row_newbcast:1 row_mask:0xf bank_mask:0xf// 000000003F24: 0A7272FA FF015119
	v_mul_f32_dpp v58, v25, v58 row_newbcast:2 row_mask:0xf bank_mask:0xf// 000000003F2C: 0A7474FA FF015219
	v_mul_f32_dpp v59, v25, v59 row_newbcast:3 row_mask:0xf bank_mask:0xf// 000000003F34: 0A7676FA FF015319
	v_cvt_f32_i32_e32 v60, v60                                 // 000000003F3C: 7E780B3C
	v_cvt_f32_i32_e32 v61, v61                                 // 000000003F40: 7E7A0B3D
	v_cvt_f32_i32_e32 v62, v62                                 // 000000003F44: 7E7C0B3E
	v_cvt_f32_i32_e32 v63, v63                                 // 000000003F48: 7E7E0B3F
	v_mul_f32_dpp v60, v25, v60 row_newbcast:4 row_mask:0xf bank_mask:0xf// 000000003F4C: 0A7878FA FF015419
	v_mul_f32_dpp v61, v25, v61 row_newbcast:5 row_mask:0xf bank_mask:0xf// 000000003F54: 0A7A7AFA FF015519
	v_mul_f32_dpp v62, v25, v62 row_newbcast:6 row_mask:0xf bank_mask:0xf// 000000003F5C: 0A7C7CFA FF015619
	v_mul_f32_dpp v63, v25, v63 row_newbcast:7 row_mask:0xf bank_mask:0xf// 000000003F64: 0A7E7EFA FF015719
	v_cvt_f32_i32_e32 v64, v64                                 // 000000003F6C: 7E800B40
	v_cvt_f32_i32_e32 v65, v65                                 // 000000003F70: 7E820B41
	v_cvt_f32_i32_e32 v66, v66                                 // 000000003F74: 7E840B42
	v_cvt_f32_i32_e32 v67, v67                                 // 000000003F78: 7E860B43
	v_mul_f32_dpp v64, v25, v64 row_newbcast:4 row_mask:0xf bank_mask:0xf// 000000003F7C: 0A8080FA FF015419
	v_mul_f32_dpp v65, v25, v65 row_newbcast:5 row_mask:0xf bank_mask:0xf// 000000003F84: 0A8282FA FF015519
	v_mul_f32_dpp v66, v25, v66 row_newbcast:6 row_mask:0xf bank_mask:0xf// 000000003F8C: 0A8484FA FF015619
	v_mul_f32_dpp v67, v25, v67 row_newbcast:7 row_mask:0xf bank_mask:0xf// 000000003F94: 0A8686FA FF015719
	v_cvt_f32_i32_e32 v68, v68                                 // 000000003F9C: 7E880B44
	v_cvt_f32_i32_e32 v69, v69                                 // 000000003FA0: 7E8A0B45
	v_cvt_f32_i32_e32 v70, v70                                 // 000000003FA4: 7E8C0B46
	v_cvt_f32_i32_e32 v71, v71                                 // 000000003FA8: 7E8E0B47
	v_mul_f32_dpp v68, v25, v68 row_newbcast:8 row_mask:0xf bank_mask:0xf// 000000003FAC: 0A8888FA FF015819
	v_mul_f32_dpp v69, v25, v69 row_newbcast:9 row_mask:0xf bank_mask:0xf// 000000003FB4: 0A8A8AFA FF015919
	v_mul_f32_dpp v70, v25, v70 row_newbcast:10 row_mask:0xf bank_mask:0xf// 000000003FBC: 0A8C8CFA FF015A19
	v_mul_f32_dpp v71, v25, v71 row_newbcast:11 row_mask:0xf bank_mask:0xf// 000000003FC4: 0A8E8EFA FF015B19
	v_cvt_f32_i32_e32 v72, v72                                 // 000000003FCC: 7E900B48
	v_cvt_f32_i32_e32 v73, v73                                 // 000000003FD0: 7E920B49
	v_cvt_f32_i32_e32 v74, v74                                 // 000000003FD4: 7E940B4A
	v_cvt_f32_i32_e32 v75, v75                                 // 000000003FD8: 7E960B4B
	v_mul_f32_dpp v72, v25, v72 row_newbcast:8 row_mask:0xf bank_mask:0xf// 000000003FDC: 0A9090FA FF015819
	v_mul_f32_dpp v73, v25, v73 row_newbcast:9 row_mask:0xf bank_mask:0xf// 000000003FE4: 0A9292FA FF015919
	v_mul_f32_dpp v74, v25, v74 row_newbcast:10 row_mask:0xf bank_mask:0xf// 000000003FEC: 0A9494FA FF015A19
	v_mul_f32_dpp v75, v25, v75 row_newbcast:11 row_mask:0xf bank_mask:0xf// 000000003FF4: 0A9696FA FF015B19
	v_cvt_f32_i32_e32 v76, v76                                 // 000000003FFC: 7E980B4C
	v_cvt_f32_i32_e32 v77, v77                                 // 000000004000: 7E9A0B4D
	v_cvt_f32_i32_e32 v78, v78                                 // 000000004004: 7E9C0B4E
	v_cvt_f32_i32_e32 v79, v79                                 // 000000004008: 7E9E0B4F
	v_mul_f32_dpp v76, v25, v76 row_newbcast:12 row_mask:0xf bank_mask:0xf// 00000000400C: 0A9898FA FF015C19
	v_mul_f32_dpp v77, v25, v77 row_newbcast:13 row_mask:0xf bank_mask:0xf// 000000004014: 0A9A9AFA FF015D19
	v_mul_f32_dpp v78, v25, v78 row_newbcast:14 row_mask:0xf bank_mask:0xf// 00000000401C: 0A9C9CFA FF015E19
	v_mul_f32_dpp v79, v25, v79 row_newbcast:15 row_mask:0xf bank_mask:0xf// 000000004024: 0A9E9EFA FF015F19
	v_cvt_f32_i32_e32 v80, v80                                 // 00000000402C: 7EA00B50
	v_cvt_f32_i32_e32 v81, v81                                 // 000000004030: 7EA20B51
	v_cvt_f32_i32_e32 v82, v82                                 // 000000004034: 7EA40B52
	v_cvt_f32_i32_e32 v83, v83                                 // 000000004038: 7EA60B53
	v_mul_f32_dpp v80, v25, v80 row_newbcast:12 row_mask:0xf bank_mask:0xf// 00000000403C: 0AA0A0FA FF015C19
	v_mul_f32_dpp v81, v25, v81 row_newbcast:13 row_mask:0xf bank_mask:0xf// 000000004044: 0AA2A2FA FF015D19
	v_mul_f32_dpp v82, v25, v82 row_newbcast:14 row_mask:0xf bank_mask:0xf// 00000000404C: 0AA4A4FA FF015E19
	v_mul_f32_dpp v83, v25, v83 row_newbcast:15 row_mask:0xf bank_mask:0xf// 000000004054: 0AA6A6FA FF015F19
	v_cvt_f32_i32_e32 v84, v84                                 // 00000000405C: 7EA80B54
	v_cvt_f32_i32_e32 v85, v85                                 // 000000004060: 7EAA0B55
	v_cvt_f32_i32_e32 v86, v86                                 // 000000004064: 7EAC0B56
	v_cvt_f32_i32_e32 v87, v87                                 // 000000004068: 7EAE0B57
	v_mul_f32_dpp v84, v26, v84 row_newbcast:0 row_mask:0xf bank_mask:0xf// 00000000406C: 0AA8A8FA FF01501A
	v_mul_f32_dpp v85, v26, v85 row_newbcast:1 row_mask:0xf bank_mask:0xf// 000000004074: 0AAAAAFA FF01511A
	v_mul_f32_dpp v86, v26, v86 row_newbcast:2 row_mask:0xf bank_mask:0xf// 00000000407C: 0AACACFA FF01521A
	v_mul_f32_dpp v87, v26, v87 row_newbcast:3 row_mask:0xf bank_mask:0xf// 000000004084: 0AAEAEFA FF01531A
	v_cvt_f32_i32_e32 v88, v88                                 // 00000000408C: 7EB00B58
	v_cvt_f32_i32_e32 v89, v89                                 // 000000004090: 7EB20B59
	v_cvt_f32_i32_e32 v90, v90                                 // 000000004094: 7EB40B5A
	v_cvt_f32_i32_e32 v91, v91                                 // 000000004098: 7EB60B5B
	v_mul_f32_dpp v88, v26, v88 row_newbcast:0 row_mask:0xf bank_mask:0xf// 00000000409C: 0AB0B0FA FF01501A
	v_mul_f32_dpp v89, v26, v89 row_newbcast:1 row_mask:0xf bank_mask:0xf// 0000000040A4: 0AB2B2FA FF01511A
	v_mul_f32_dpp v90, v26, v90 row_newbcast:2 row_mask:0xf bank_mask:0xf// 0000000040AC: 0AB4B4FA FF01521A
	v_mul_f32_dpp v91, v26, v91 row_newbcast:3 row_mask:0xf bank_mask:0xf// 0000000040B4: 0AB6B6FA FF01531A
	v_cvt_f32_i32_e32 v92, v92                                 // 0000000040BC: 7EB80B5C
	v_cvt_f32_i32_e32 v93, v93                                 // 0000000040C0: 7EBA0B5D
	v_cvt_f32_i32_e32 v94, v94                                 // 0000000040C4: 7EBC0B5E
	v_cvt_f32_i32_e32 v95, v95                                 // 0000000040C8: 7EBE0B5F
	v_mul_f32_dpp v92, v26, v92 row_newbcast:4 row_mask:0xf bank_mask:0xf// 0000000040CC: 0AB8B8FA FF01541A
	v_mul_f32_dpp v93, v26, v93 row_newbcast:5 row_mask:0xf bank_mask:0xf// 0000000040D4: 0ABABAFA FF01551A
	v_mul_f32_dpp v94, v26, v94 row_newbcast:6 row_mask:0xf bank_mask:0xf// 0000000040DC: 0ABCBCFA FF01561A
	v_mul_f32_dpp v95, v26, v95 row_newbcast:7 row_mask:0xf bank_mask:0xf// 0000000040E4: 0ABEBEFA FF01571A
	v_cvt_f32_i32_e32 v96, v96                                 // 0000000040EC: 7EC00B60
	v_cvt_f32_i32_e32 v97, v97                                 // 0000000040F0: 7EC20B61
	v_cvt_f32_i32_e32 v98, v98                                 // 0000000040F4: 7EC40B62
	v_cvt_f32_i32_e32 v99, v99                                 // 0000000040F8: 7EC60B63
	v_mul_f32_dpp v96, v26, v96 row_newbcast:4 row_mask:0xf bank_mask:0xf// 0000000040FC: 0AC0C0FA FF01541A
	v_mul_f32_dpp v97, v26, v97 row_newbcast:5 row_mask:0xf bank_mask:0xf// 000000004104: 0AC2C2FA FF01551A
	v_mul_f32_dpp v98, v26, v98 row_newbcast:6 row_mask:0xf bank_mask:0xf// 00000000410C: 0AC4C4FA FF01561A
	v_mul_f32_dpp v99, v26, v99 row_newbcast:7 row_mask:0xf bank_mask:0xf// 000000004114: 0AC6C6FA FF01571A
	v_cvt_f32_i32_e32 v100, v100                               // 00000000411C: 7EC80B64
	v_cvt_f32_i32_e32 v101, v101                               // 000000004120: 7ECA0B65
	v_cvt_f32_i32_e32 v102, v102                               // 000000004124: 7ECC0B66
	v_cvt_f32_i32_e32 v103, v103                               // 000000004128: 7ECE0B67
	v_mul_f32_dpp v100, v26, v100 row_newbcast:8 row_mask:0xf bank_mask:0xf// 00000000412C: 0AC8C8FA FF01581A
	v_mul_f32_dpp v101, v26, v101 row_newbcast:9 row_mask:0xf bank_mask:0xf// 000000004134: 0ACACAFA FF01591A
	v_mul_f32_dpp v102, v26, v102 row_newbcast:10 row_mask:0xf bank_mask:0xf// 00000000413C: 0ACCCCFA FF015A1A
	v_mul_f32_dpp v103, v26, v103 row_newbcast:11 row_mask:0xf bank_mask:0xf// 000000004144: 0ACECEFA FF015B1A
	v_cvt_f32_i32_e32 v104, v104                               // 00000000414C: 7ED00B68
	v_cvt_f32_i32_e32 v105, v105                               // 000000004150: 7ED20B69
	v_cvt_f32_i32_e32 v106, v106                               // 000000004154: 7ED40B6A
	v_cvt_f32_i32_e32 v107, v107                               // 000000004158: 7ED60B6B
	v_mul_f32_dpp v104, v26, v104 row_newbcast:8 row_mask:0xf bank_mask:0xf// 00000000415C: 0AD0D0FA FF01581A
	v_mul_f32_dpp v105, v26, v105 row_newbcast:9 row_mask:0xf bank_mask:0xf// 000000004164: 0AD2D2FA FF01591A
	v_mul_f32_dpp v106, v26, v106 row_newbcast:10 row_mask:0xf bank_mask:0xf// 00000000416C: 0AD4D4FA FF015A1A
	v_mul_f32_dpp v107, v26, v107 row_newbcast:11 row_mask:0xf bank_mask:0xf// 000000004174: 0AD6D6FA FF015B1A
	v_cvt_f32_i32_e32 v108, v108                               // 00000000417C: 7ED80B6C
	v_cvt_f32_i32_e32 v109, v109                               // 000000004180: 7EDA0B6D
	v_cvt_f32_i32_e32 v110, v110                               // 000000004184: 7EDC0B6E
	v_cvt_f32_i32_e32 v111, v111                               // 000000004188: 7EDE0B6F
	v_mul_f32_dpp v108, v26, v108 row_newbcast:12 row_mask:0xf bank_mask:0xf// 00000000418C: 0AD8D8FA FF015C1A
	v_mul_f32_dpp v109, v26, v109 row_newbcast:13 row_mask:0xf bank_mask:0xf// 000000004194: 0ADADAFA FF015D1A
	v_mul_f32_dpp v110, v26, v110 row_newbcast:14 row_mask:0xf bank_mask:0xf// 00000000419C: 0ADCDCFA FF015E1A
	v_mul_f32_dpp v111, v26, v111 row_newbcast:15 row_mask:0xf bank_mask:0xf// 0000000041A4: 0ADEDEFA FF015F1A
	v_cvt_f32_i32_e32 v112, v112                               // 0000000041AC: 7EE00B70
	v_cvt_f32_i32_e32 v113, v113                               // 0000000041B0: 7EE20B71
	v_cvt_f32_i32_e32 v114, v114                               // 0000000041B4: 7EE40B72
	v_cvt_f32_i32_e32 v115, v115                               // 0000000041B8: 7EE60B73
	v_mul_f32_dpp v112, v26, v112 row_newbcast:12 row_mask:0xf bank_mask:0xf// 0000000041BC: 0AE0E0FA FF015C1A
	v_mul_f32_dpp v113, v26, v113 row_newbcast:13 row_mask:0xf bank_mask:0xf// 0000000041C4: 0AE2E2FA FF015D1A
	v_mul_f32_dpp v114, v26, v114 row_newbcast:14 row_mask:0xf bank_mask:0xf// 0000000041CC: 0AE4E4FA FF015E1A
	v_mul_f32_dpp v115, v26, v115 row_newbcast:15 row_mask:0xf bank_mask:0xf// 0000000041D4: 0AE6E6FA FF015F1A
	v_cvt_f32_i32_e32 v116, v116                               // 0000000041DC: 7EE80B74
	v_cvt_f32_i32_e32 v117, v117                               // 0000000041E0: 7EEA0B75
	v_cvt_f32_i32_e32 v118, v118                               // 0000000041E4: 7EEC0B76
	v_cvt_f32_i32_e32 v119, v119                               // 0000000041E8: 7EEE0B77
	v_mul_f32_dpp v116, v27, v116 row_newbcast:0 row_mask:0xf bank_mask:0xf// 0000000041EC: 0AE8E8FA FF01501B
	v_mul_f32_dpp v117, v27, v117 row_newbcast:1 row_mask:0xf bank_mask:0xf// 0000000041F4: 0AEAEAFA FF01511B
	v_mul_f32_dpp v118, v27, v118 row_newbcast:2 row_mask:0xf bank_mask:0xf// 0000000041FC: 0AECECFA FF01521B
	v_mul_f32_dpp v119, v27, v119 row_newbcast:3 row_mask:0xf bank_mask:0xf// 000000004204: 0AEEEEFA FF01531B
	v_cvt_f32_i32_e32 v120, v120                               // 00000000420C: 7EF00B78
	v_cvt_f32_i32_e32 v121, v121                               // 000000004210: 7EF20B79
	v_cvt_f32_i32_e32 v122, v122                               // 000000004214: 7EF40B7A
	v_cvt_f32_i32_e32 v123, v123                               // 000000004218: 7EF60B7B
	v_mul_f32_dpp v120, v27, v120 row_newbcast:0 row_mask:0xf bank_mask:0xf// 00000000421C: 0AF0F0FA FF01501B
	v_mul_f32_dpp v121, v27, v121 row_newbcast:1 row_mask:0xf bank_mask:0xf// 000000004224: 0AF2F2FA FF01511B
	v_mul_f32_dpp v122, v27, v122 row_newbcast:2 row_mask:0xf bank_mask:0xf// 00000000422C: 0AF4F4FA FF01521B
	v_mul_f32_dpp v123, v27, v123 row_newbcast:3 row_mask:0xf bank_mask:0xf// 000000004234: 0AF6F6FA FF01531B
	v_cvt_f32_i32_e32 v124, v124                               // 00000000423C: 7EF80B7C
	v_cvt_f32_i32_e32 v125, v125                               // 000000004240: 7EFA0B7D
	v_cvt_f32_i32_e32 v126, v126                               // 000000004244: 7EFC0B7E
	v_cvt_f32_i32_e32 v127, v127                               // 000000004248: 7EFE0B7F
	v_mul_f32_dpp v124, v27, v124 row_newbcast:4 row_mask:0xf bank_mask:0xf// 00000000424C: 0AF8F8FA FF01541B
	v_mul_f32_dpp v125, v27, v125 row_newbcast:5 row_mask:0xf bank_mask:0xf// 000000004254: 0AFAFAFA FF01551B
	v_mul_f32_dpp v126, v27, v126 row_newbcast:6 row_mask:0xf bank_mask:0xf// 00000000425C: 0AFCFCFA FF01561B
	v_mul_f32_dpp v127, v27, v127 row_newbcast:7 row_mask:0xf bank_mask:0xf// 000000004264: 0AFEFEFA FF01571B
	v_cvt_f32_i32_e32 v128, v128                               // 00000000426C: 7F000B80
	v_cvt_f32_i32_e32 v129, v129                               // 000000004270: 7F020B81
	v_cvt_f32_i32_e32 v130, v130                               // 000000004274: 7F040B82
	v_cvt_f32_i32_e32 v131, v131                               // 000000004278: 7F060B83
	v_mul_f32_dpp v128, v27, v128 row_newbcast:4 row_mask:0xf bank_mask:0xf// 00000000427C: 0B0100FA FF01541B
	v_mul_f32_dpp v129, v27, v129 row_newbcast:5 row_mask:0xf bank_mask:0xf// 000000004284: 0B0302FA FF01551B
	v_mul_f32_dpp v130, v27, v130 row_newbcast:6 row_mask:0xf bank_mask:0xf// 00000000428C: 0B0504FA FF01561B
	v_mul_f32_dpp v131, v27, v131 row_newbcast:7 row_mask:0xf bank_mask:0xf// 000000004294: 0B0706FA FF01571B
	v_cvt_f32_i32_e32 v132, v132                               // 00000000429C: 7F080B84
	v_cvt_f32_i32_e32 v133, v133                               // 0000000042A0: 7F0A0B85
	v_cvt_f32_i32_e32 v134, v134                               // 0000000042A4: 7F0C0B86
	v_cvt_f32_i32_e32 v135, v135                               // 0000000042A8: 7F0E0B87
	v_mul_f32_dpp v132, v27, v132 row_newbcast:8 row_mask:0xf bank_mask:0xf// 0000000042AC: 0B0908FA FF01581B
	v_mul_f32_dpp v133, v27, v133 row_newbcast:9 row_mask:0xf bank_mask:0xf// 0000000042B4: 0B0B0AFA FF01591B
	v_mul_f32_dpp v134, v27, v134 row_newbcast:10 row_mask:0xf bank_mask:0xf// 0000000042BC: 0B0D0CFA FF015A1B
	v_mul_f32_dpp v135, v27, v135 row_newbcast:11 row_mask:0xf bank_mask:0xf// 0000000042C4: 0B0F0EFA FF015B1B
	v_cvt_f32_i32_e32 v136, v136                               // 0000000042CC: 7F100B88
	v_cvt_f32_i32_e32 v137, v137                               // 0000000042D0: 7F120B89
	v_cvt_f32_i32_e32 v138, v138                               // 0000000042D4: 7F140B8A
	v_cvt_f32_i32_e32 v139, v139                               // 0000000042D8: 7F160B8B
	v_mul_f32_dpp v136, v27, v136 row_newbcast:8 row_mask:0xf bank_mask:0xf// 0000000042DC: 0B1110FA FF01581B
	v_mul_f32_dpp v137, v27, v137 row_newbcast:9 row_mask:0xf bank_mask:0xf// 0000000042E4: 0B1312FA FF01591B
	v_mul_f32_dpp v138, v27, v138 row_newbcast:10 row_mask:0xf bank_mask:0xf// 0000000042EC: 0B1514FA FF015A1B
	v_mul_f32_dpp v139, v27, v139 row_newbcast:11 row_mask:0xf bank_mask:0xf// 0000000042F4: 0B1716FA FF015B1B
	v_cvt_f32_i32_e32 v140, v140                               // 0000000042FC: 7F180B8C
	v_cvt_f32_i32_e32 v141, v141                               // 000000004300: 7F1A0B8D
	v_cvt_f32_i32_e32 v142, v142                               // 000000004304: 7F1C0B8E
	v_cvt_f32_i32_e32 v143, v143                               // 000000004308: 7F1E0B8F
	v_mul_f32_dpp v140, v27, v140 row_newbcast:12 row_mask:0xf bank_mask:0xf// 00000000430C: 0B1918FA FF015C1B
	v_mul_f32_dpp v141, v27, v141 row_newbcast:13 row_mask:0xf bank_mask:0xf// 000000004314: 0B1B1AFA FF015D1B
	v_mul_f32_dpp v142, v27, v142 row_newbcast:14 row_mask:0xf bank_mask:0xf// 00000000431C: 0B1D1CFA FF015E1B
	v_mul_f32_dpp v143, v27, v143 row_newbcast:15 row_mask:0xf bank_mask:0xf// 000000004324: 0B1F1EFA FF015F1B
	v_cvt_f32_i32_e32 v144, v144                               // 00000000432C: 7F200B90
	v_cvt_f32_i32_e32 v145, v145                               // 000000004330: 7F220B91
	v_cvt_f32_i32_e32 v146, v146                               // 000000004334: 7F240B92
	v_cvt_f32_i32_e32 v147, v147                               // 000000004338: 7F260B93
	v_mul_f32_dpp v144, v27, v144 row_newbcast:12 row_mask:0xf bank_mask:0xf// 00000000433C: 0B2120FA FF015C1B
	v_mul_f32_dpp v145, v27, v145 row_newbcast:13 row_mask:0xf bank_mask:0xf// 000000004344: 0B2322FA FF015D1B
	v_mul_f32_dpp v146, v27, v146 row_newbcast:14 row_mask:0xf bank_mask:0xf// 00000000434C: 0B2524FA FF015E1B
	v_mul_f32_dpp v147, v27, v147 row_newbcast:15 row_mask:0xf bank_mask:0xf// 000000004354: 0B2726FA FF015F1B
	v_cvt_f32_i32_e32 v148, v148                               // 00000000435C: 7F280B94
	v_cvt_f32_i32_e32 v149, v149                               // 000000004360: 7F2A0B95
	v_cvt_f32_i32_e32 v150, v150                               // 000000004364: 7F2C0B96
	v_cvt_f32_i32_e32 v151, v151                               // 000000004368: 7F2E0B97
	v_mul_f32_dpp v148, v28, v148 row_newbcast:0 row_mask:0xf bank_mask:0xf// 00000000436C: 0B2928FA FF01501C
	v_mul_f32_dpp v149, v28, v149 row_newbcast:1 row_mask:0xf bank_mask:0xf// 000000004374: 0B2B2AFA FF01511C
	v_mul_f32_dpp v150, v28, v150 row_newbcast:2 row_mask:0xf bank_mask:0xf// 00000000437C: 0B2D2CFA FF01521C
	v_mul_f32_dpp v151, v28, v151 row_newbcast:3 row_mask:0xf bank_mask:0xf// 000000004384: 0B2F2EFA FF01531C
	v_cvt_f32_i32_e32 v152, v152                               // 00000000438C: 7F300B98
	v_cvt_f32_i32_e32 v153, v153                               // 000000004390: 7F320B99
	v_cvt_f32_i32_e32 v154, v154                               // 000000004394: 7F340B9A
	v_cvt_f32_i32_e32 v155, v155                               // 000000004398: 7F360B9B
	v_mul_f32_dpp v152, v28, v152 row_newbcast:0 row_mask:0xf bank_mask:0xf// 00000000439C: 0B3130FA FF01501C
	v_mul_f32_dpp v153, v28, v153 row_newbcast:1 row_mask:0xf bank_mask:0xf// 0000000043A4: 0B3332FA FF01511C
	v_mul_f32_dpp v154, v28, v154 row_newbcast:2 row_mask:0xf bank_mask:0xf// 0000000043AC: 0B3534FA FF01521C
	v_mul_f32_dpp v155, v28, v155 row_newbcast:3 row_mask:0xf bank_mask:0xf// 0000000043B4: 0B3736FA FF01531C
	v_cvt_f32_i32_e32 v156, v156                               // 0000000043BC: 7F380B9C
	v_cvt_f32_i32_e32 v157, v157                               // 0000000043C0: 7F3A0B9D
	v_cvt_f32_i32_e32 v158, v158                               // 0000000043C4: 7F3C0B9E
	v_cvt_f32_i32_e32 v159, v159                               // 0000000043C8: 7F3E0B9F
	v_mul_f32_dpp v156, v28, v156 row_newbcast:4 row_mask:0xf bank_mask:0xf// 0000000043CC: 0B3938FA FF01541C
	v_mul_f32_dpp v157, v28, v157 row_newbcast:5 row_mask:0xf bank_mask:0xf// 0000000043D4: 0B3B3AFA FF01551C
	v_mul_f32_dpp v158, v28, v158 row_newbcast:6 row_mask:0xf bank_mask:0xf// 0000000043DC: 0B3D3CFA FF01561C
	v_mul_f32_dpp v159, v28, v159 row_newbcast:7 row_mask:0xf bank_mask:0xf// 0000000043E4: 0B3F3EFA FF01571C
	v_cvt_f32_i32_e32 v160, v160                               // 0000000043EC: 7F400BA0
	v_cvt_f32_i32_e32 v161, v161                               // 0000000043F0: 7F420BA1
	v_cvt_f32_i32_e32 v162, v162                               // 0000000043F4: 7F440BA2
	v_cvt_f32_i32_e32 v163, v163                               // 0000000043F8: 7F460BA3
	v_mul_f32_dpp v160, v28, v160 row_newbcast:4 row_mask:0xf bank_mask:0xf// 0000000043FC: 0B4140FA FF01541C
	v_mul_f32_dpp v161, v28, v161 row_newbcast:5 row_mask:0xf bank_mask:0xf// 000000004404: 0B4342FA FF01551C
	v_mul_f32_dpp v162, v28, v162 row_newbcast:6 row_mask:0xf bank_mask:0xf// 00000000440C: 0B4544FA FF01561C
	v_mul_f32_dpp v163, v28, v163 row_newbcast:7 row_mask:0xf bank_mask:0xf// 000000004414: 0B4746FA FF01571C
	v_cvt_f32_i32_e32 v164, v164                               // 00000000441C: 7F480BA4
	v_cvt_f32_i32_e32 v165, v165                               // 000000004420: 7F4A0BA5
	v_cvt_f32_i32_e32 v166, v166                               // 000000004424: 7F4C0BA6
	v_cvt_f32_i32_e32 v167, v167                               // 000000004428: 7F4E0BA7
	v_mul_f32_dpp v164, v28, v164 row_newbcast:8 row_mask:0xf bank_mask:0xf// 00000000442C: 0B4948FA FF01581C
	v_mul_f32_dpp v165, v28, v165 row_newbcast:9 row_mask:0xf bank_mask:0xf// 000000004434: 0B4B4AFA FF01591C
	v_mul_f32_dpp v166, v28, v166 row_newbcast:10 row_mask:0xf bank_mask:0xf// 00000000443C: 0B4D4CFA FF015A1C
	v_mul_f32_dpp v167, v28, v167 row_newbcast:11 row_mask:0xf bank_mask:0xf// 000000004444: 0B4F4EFA FF015B1C
	v_cvt_f32_i32_e32 v168, v168                               // 00000000444C: 7F500BA8
	v_cvt_f32_i32_e32 v169, v169                               // 000000004450: 7F520BA9
	v_cvt_f32_i32_e32 v170, v170                               // 000000004454: 7F540BAA
	v_cvt_f32_i32_e32 v171, v171                               // 000000004458: 7F560BAB
	v_mul_f32_dpp v168, v28, v168 row_newbcast:8 row_mask:0xf bank_mask:0xf// 00000000445C: 0B5150FA FF01581C
	v_mul_f32_dpp v169, v28, v169 row_newbcast:9 row_mask:0xf bank_mask:0xf// 000000004464: 0B5352FA FF01591C
	v_mul_f32_dpp v170, v28, v170 row_newbcast:10 row_mask:0xf bank_mask:0xf// 00000000446C: 0B5554FA FF015A1C
	v_mul_f32_dpp v171, v28, v171 row_newbcast:11 row_mask:0xf bank_mask:0xf// 000000004474: 0B5756FA FF015B1C
	v_cvt_f32_i32_e32 v172, v172                               // 00000000447C: 7F580BAC
	v_cvt_f32_i32_e32 v173, v173                               // 000000004480: 7F5A0BAD
	v_cvt_f32_i32_e32 v174, v174                               // 000000004484: 7F5C0BAE
	v_cvt_f32_i32_e32 v175, v175                               // 000000004488: 7F5E0BAF
	v_mul_f32_dpp v172, v28, v172 row_newbcast:12 row_mask:0xf bank_mask:0xf// 00000000448C: 0B5958FA FF015C1C
	v_mul_f32_dpp v173, v28, v173 row_newbcast:13 row_mask:0xf bank_mask:0xf// 000000004494: 0B5B5AFA FF015D1C
	v_mul_f32_dpp v174, v28, v174 row_newbcast:14 row_mask:0xf bank_mask:0xf// 00000000449C: 0B5D5CFA FF015E1C
	v_mul_f32_dpp v175, v28, v175 row_newbcast:15 row_mask:0xf bank_mask:0xf// 0000000044A4: 0B5F5EFA FF015F1C
	v_cvt_f32_i32_e32 v176, v176                               // 0000000044AC: 7F600BB0
	v_cvt_f32_i32_e32 v177, v177                               // 0000000044B0: 7F620BB1
	v_cvt_f32_i32_e32 v178, v178                               // 0000000044B4: 7F640BB2
	v_cvt_f32_i32_e32 v179, v179                               // 0000000044B8: 7F660BB3
	v_mul_f32_dpp v176, v28, v176 row_newbcast:12 row_mask:0xf bank_mask:0xf// 0000000044BC: 0B6160FA FF015C1C
	v_mul_f32_dpp v177, v28, v177 row_newbcast:13 row_mask:0xf bank_mask:0xf// 0000000044C4: 0B6362FA FF015D1C
	v_mul_f32_dpp v178, v28, v178 row_newbcast:14 row_mask:0xf bank_mask:0xf// 0000000044CC: 0B6564FA FF015E1C
	v_mul_f32_dpp v179, v28, v179 row_newbcast:15 row_mask:0xf bank_mask:0xf// 0000000044D4: 0B6766FA FF015F1C
	v_mov_b32_e32 v4, v31                                      // 0000000044DC: 7E08031F
	v_mov_b32_e32 v5, v4                                       // 0000000044E0: 7E0A0304
	v_pk_mul_f32 v[52:53], v[4:5], v[52:53]                    // 0000000044E4: D3B14034 18026904
	v_pk_mul_f32 v[116:117], v[4:5], v[116:117]                // 0000000044EC: D3B14074 1802E904
	v_pk_mul_f32 v[54:55], v[4:5], v[54:55]                    // 0000000044F4: D3B14036 18026D04
	v_pk_mul_f32 v[118:119], v[4:5], v[118:119]                // 0000000044FC: D3B14076 1802ED04
	v_pk_mul_f32 v[60:61], v[4:5], v[60:61]                    // 000000004504: D3B1403C 18027904
	v_pk_mul_f32 v[124:125], v[4:5], v[124:125]                // 00000000450C: D3B1407C 1802F904
	v_pk_mul_f32 v[62:63], v[4:5], v[62:63]                    // 000000004514: D3B1403E 18027D04
	v_pk_mul_f32 v[126:127], v[4:5], v[126:127]                // 00000000451C: D3B1407E 1802FD04
	v_pk_mul_f32 v[68:69], v[4:5], v[68:69]                    // 000000004524: D3B14044 18028904
	v_pk_mul_f32 v[132:133], v[4:5], v[132:133]                // 00000000452C: D3B14084 18030904
	v_pk_mul_f32 v[70:71], v[4:5], v[70:71]                    // 000000004534: D3B14046 18028D04
	v_pk_mul_f32 v[134:135], v[4:5], v[134:135]                // 00000000453C: D3B14086 18030D04
	v_pk_mul_f32 v[76:77], v[4:5], v[76:77]                    // 000000004544: D3B1404C 18029904
	v_pk_mul_f32 v[140:141], v[4:5], v[140:141]                // 00000000454C: D3B1408C 18031904
	v_pk_mul_f32 v[78:79], v[4:5], v[78:79]                    // 000000004554: D3B1404E 18029D04
	v_pk_mul_f32 v[142:143], v[4:5], v[142:143]                // 00000000455C: D3B1408E 18031D04
	v_pk_mul_f32 v[84:85], v[4:5], v[84:85]                    // 000000004564: D3B14054 1802A904
	v_pk_mul_f32 v[148:149], v[4:5], v[148:149]                // 00000000456C: D3B14094 18032904
	v_pk_mul_f32 v[86:87], v[4:5], v[86:87]                    // 000000004574: D3B14056 1802AD04
	v_pk_mul_f32 v[150:151], v[4:5], v[150:151]                // 00000000457C: D3B14096 18032D04
	v_pk_mul_f32 v[92:93], v[4:5], v[92:93]                    // 000000004584: D3B1405C 1802B904
	v_pk_mul_f32 v[156:157], v[4:5], v[156:157]                // 00000000458C: D3B1409C 18033904
	v_pk_mul_f32 v[94:95], v[4:5], v[94:95]                    // 000000004594: D3B1405E 1802BD04
	v_pk_mul_f32 v[158:159], v[4:5], v[158:159]                // 00000000459C: D3B1409E 18033D04
	v_pk_mul_f32 v[100:101], v[4:5], v[100:101]                // 0000000045A4: D3B14064 1802C904
	v_pk_mul_f32 v[164:165], v[4:5], v[164:165]                // 0000000045AC: D3B140A4 18034904
	v_pk_mul_f32 v[102:103], v[4:5], v[102:103]                // 0000000045B4: D3B14066 1802CD04
	v_pk_mul_f32 v[166:167], v[4:5], v[166:167]                // 0000000045BC: D3B140A6 18034D04
	v_pk_mul_f32 v[108:109], v[4:5], v[108:109]                // 0000000045C4: D3B1406C 1802D904
	v_pk_mul_f32 v[172:173], v[4:5], v[172:173]                // 0000000045CC: D3B140AC 18035904
	v_pk_mul_f32 v[110:111], v[4:5], v[110:111]                // 0000000045D4: D3B1406E 1802DD04
	v_pk_mul_f32 v[174:175], v[4:5], v[174:175]                // 0000000045DC: D3B140AE 18035D04
	v_mov_b32_e32 v4, v32                                      // 0000000045E4: 7E080320
	v_mov_b32_e32 v5, v4                                       // 0000000045E8: 7E0A0304
	v_pk_mul_f32 v[56:57], v[4:5], v[56:57]                    // 0000000045EC: D3B14038 18027104
	v_pk_mul_f32 v[120:121], v[4:5], v[120:121]                // 0000000045F4: D3B14078 1802F104
	v_pk_mul_f32 v[58:59], v[4:5], v[58:59]                    // 0000000045FC: D3B1403A 18027504
	v_pk_mul_f32 v[122:123], v[4:5], v[122:123]                // 000000004604: D3B1407A 1802F504
	v_pk_mul_f32 v[64:65], v[4:5], v[64:65]                    // 00000000460C: D3B14040 18028104
	v_pk_mul_f32 v[128:129], v[4:5], v[128:129]                // 000000004614: D3B14080 18030104
	v_pk_mul_f32 v[66:67], v[4:5], v[66:67]                    // 00000000461C: D3B14042 18028504
	v_pk_mul_f32 v[130:131], v[4:5], v[130:131]                // 000000004624: D3B14082 18030504
	v_pk_mul_f32 v[72:73], v[4:5], v[72:73]                    // 00000000462C: D3B14048 18029104
	v_pk_mul_f32 v[136:137], v[4:5], v[136:137]                // 000000004634: D3B14088 18031104
	v_pk_mul_f32 v[74:75], v[4:5], v[74:75]                    // 00000000463C: D3B1404A 18029504
	v_pk_mul_f32 v[138:139], v[4:5], v[138:139]                // 000000004644: D3B1408A 18031504
	v_pk_mul_f32 v[80:81], v[4:5], v[80:81]                    // 00000000464C: D3B14050 1802A104
	v_pk_mul_f32 v[144:145], v[4:5], v[144:145]                // 000000004654: D3B14090 18032104
	v_pk_mul_f32 v[82:83], v[4:5], v[82:83]                    // 00000000465C: D3B14052 1802A504
	v_pk_mul_f32 v[146:147], v[4:5], v[146:147]                // 000000004664: D3B14092 18032504
	v_pk_mul_f32 v[88:89], v[4:5], v[88:89]                    // 00000000466C: D3B14058 1802B104
	v_pk_mul_f32 v[152:153], v[4:5], v[152:153]                // 000000004674: D3B14098 18033104
	v_pk_mul_f32 v[90:91], v[4:5], v[90:91]                    // 00000000467C: D3B1405A 1802B504
	v_pk_mul_f32 v[154:155], v[4:5], v[154:155]                // 000000004684: D3B1409A 18033504
	v_pk_mul_f32 v[96:97], v[4:5], v[96:97]                    // 00000000468C: D3B14060 1802C104
	v_pk_mul_f32 v[160:161], v[4:5], v[160:161]                // 000000004694: D3B140A0 18034104
	v_pk_mul_f32 v[98:99], v[4:5], v[98:99]                    // 00000000469C: D3B14062 1802C504
	v_pk_mul_f32 v[162:163], v[4:5], v[162:163]                // 0000000046A4: D3B140A2 18034504
	v_pk_mul_f32 v[104:105], v[4:5], v[104:105]                // 0000000046AC: D3B14068 1802D104
	v_pk_mul_f32 v[168:169], v[4:5], v[168:169]                // 0000000046B4: D3B140A8 18035104
	v_pk_mul_f32 v[106:107], v[4:5], v[106:107]                // 0000000046BC: D3B1406A 1802D504
	v_pk_mul_f32 v[170:171], v[4:5], v[170:171]                // 0000000046C4: D3B140AA 18035504
	v_pk_mul_f32 v[112:113], v[4:5], v[112:113]                // 0000000046CC: D3B14070 1802E104
	v_pk_mul_f32 v[176:177], v[4:5], v[176:177]                // 0000000046D4: D3B140B0 18036104
	v_pk_mul_f32 v[114:115], v[4:5], v[114:115]                // 0000000046DC: D3B14072 1802E504
	v_pk_mul_f32 v[178:179], v[4:5], v[178:179]                // 0000000046E4: D3B140B2 18036504
	s_cmp_eq_u32 s88, 0                                        // 0000000046EC: BF068058
	s_cbranch_scc0 label_0ED6                                  // 0000000046F0: BF840799
	s_cmp_eq_u32 s89, 0                                        // 0000000046F4: BF068059
	s_cbranch_scc1 label_09C4                                  // 0000000046F8: BF850285
	v_mov_b32_e32 v8, v1                                       // 0000000046FC: 7E100301
	v_mov_b32_e32 v9, v1                                       // 000000004700: 7E120301
	s_mov_b32 s60, s6                                          // 000000004704: BEBC0006
	s_mov_b32 s61, s6                                          // 000000004708: BEBD0006
	v_pk_mul_f32 v[4:5], v[52:53], v[52:53]                    // 00000000470C: D3B14004 18026934
	v_pk_mul_f32 v[6:7], v[54:55], v[54:55]                    // 000000004714: D3B14006 18026D36
	v_pk_fma_f32 v[4:5], v[4:5], s[78:79], v[8:9]              // 00000000471C: D3B04004 1C209D04
	v_pk_fma_f32 v[6:7], v[6:7], s[78:79], v[8:9]              // 000000004724: D3B04006 1C209D06
	v_pk_mul_f32 v[4:5], v[4:5], v[52:53]                      // 00000000472C: D3B14004 18026904
	v_pk_mul_f32 v[6:7], v[6:7], v[54:55]                      // 000000004734: D3B14006 18026D06
	v_pk_mul_f32 v[4:5], v[4:5], s[60:61]                      // 00000000473C: D3B14004 18007904
	v_pk_mul_f32 v[6:7], v[6:7], s[60:61]                      // 000000004744: D3B14006 18007906
	v_exp_f32_e32 v4, v4                                       // 00000000474C: 7E084104
	v_exp_f32_e32 v5, v5                                       // 000000004750: 7E0A4105
	v_exp_f32_e32 v6, v6                                       // 000000004754: 7E0C4106
	v_exp_f32_e32 v7, v7                                       // 000000004758: 7E0E4107
	v_add_f32_e64 v4, v4, 1.0                                  // 00000000475C: D1010004 0001E504
	v_add_f32_e64 v5, v5, 1.0                                  // 000000004764: D1010005 0001E505
	v_add_f32_e64 v6, v6, 1.0                                  // 00000000476C: D1010006 0001E506
	v_add_f32_e64 v7, v7, 1.0                                  // 000000004774: D1010007 0001E507
	v_rcp_f32_e32 v4, v4                                       // 00000000477C: 7E084504
	v_rcp_f32_e32 v5, v5                                       // 000000004780: 7E0A4505
	v_rcp_f32_e32 v6, v6                                       // 000000004784: 7E0C4506
	v_rcp_f32_e32 v7, v7                                       // 000000004788: 7E0E4507
	v_mul_f32_e32 v52, v52, v4                                 // 00000000478C: 0A680934
	v_mul_f32_e32 v53, v53, v5                                 // 000000004790: 0A6A0B35
	v_mul_f32_e32 v54, v54, v6                                 // 000000004794: 0A6C0D36
	v_mul_f32_e32 v55, v55, v7                                 // 000000004798: 0A6E0F37
	v_mul_f32_e32 v52, v52, v116                               // 00000000479C: 0A68E934
	v_mul_f32_e32 v53, v53, v117                               // 0000000047A0: 0A6AEB35
	v_mul_f32_e32 v54, v54, v118                               // 0000000047A4: 0A6CED36
	v_mul_f32_e32 v55, v55, v119                               // 0000000047A8: 0A6EEF37
	v_pk_mul_f32 v[4:5], v[56:57], v[56:57]                    // 0000000047AC: D3B14004 18027138
	v_pk_mul_f32 v[6:7], v[58:59], v[58:59]                    // 0000000047B4: D3B14006 1802753A
	v_pk_fma_f32 v[4:5], v[4:5], s[78:79], v[8:9]              // 0000000047BC: D3B04004 1C209D04
	v_pk_fma_f32 v[6:7], v[6:7], s[78:79], v[8:9]              // 0000000047C4: D3B04006 1C209D06
	v_pk_mul_f32 v[4:5], v[4:5], v[56:57]                      // 0000000047CC: D3B14004 18027104
	v_pk_mul_f32 v[6:7], v[6:7], v[58:59]                      // 0000000047D4: D3B14006 18027506
	v_pk_mul_f32 v[4:5], v[4:5], s[60:61]                      // 0000000047DC: D3B14004 18007904
	v_pk_mul_f32 v[6:7], v[6:7], s[60:61]                      // 0000000047E4: D3B14006 18007906
	v_exp_f32_e32 v4, v4                                       // 0000000047EC: 7E084104
	v_exp_f32_e32 v5, v5                                       // 0000000047F0: 7E0A4105
	v_exp_f32_e32 v6, v6                                       // 0000000047F4: 7E0C4106
	v_exp_f32_e32 v7, v7                                       // 0000000047F8: 7E0E4107
	v_add_f32_e64 v4, v4, 1.0                                  // 0000000047FC: D1010004 0001E504
	v_add_f32_e64 v5, v5, 1.0                                  // 000000004804: D1010005 0001E505
	v_add_f32_e64 v6, v6, 1.0                                  // 00000000480C: D1010006 0001E506
	v_add_f32_e64 v7, v7, 1.0                                  // 000000004814: D1010007 0001E507
	v_rcp_f32_e32 v4, v4                                       // 00000000481C: 7E084504
	v_rcp_f32_e32 v5, v5                                       // 000000004820: 7E0A4505
	v_rcp_f32_e32 v6, v6                                       // 000000004824: 7E0C4506
	v_rcp_f32_e32 v7, v7                                       // 000000004828: 7E0E4507
	v_mul_f32_e32 v56, v56, v4                                 // 00000000482C: 0A700938
	v_mul_f32_e32 v57, v57, v5                                 // 000000004830: 0A720B39
	v_mul_f32_e32 v58, v58, v6                                 // 000000004834: 0A740D3A
	v_mul_f32_e32 v59, v59, v7                                 // 000000004838: 0A760F3B
	v_mul_f32_e32 v56, v56, v120                               // 00000000483C: 0A70F138
	v_mul_f32_e32 v57, v57, v121                               // 000000004840: 0A72F339
	v_mul_f32_e32 v58, v58, v122                               // 000000004844: 0A74F53A
	v_mul_f32_e32 v59, v59, v123                               // 000000004848: 0A76F73B
	v_pk_mul_f32 v[4:5], v[60:61], v[60:61]                    // 00000000484C: D3B14004 1802793C
	v_pk_mul_f32 v[6:7], v[62:63], v[62:63]                    // 000000004854: D3B14006 18027D3E
	v_pk_fma_f32 v[4:5], v[4:5], s[78:79], v[8:9]              // 00000000485C: D3B04004 1C209D04
	v_pk_fma_f32 v[6:7], v[6:7], s[78:79], v[8:9]              // 000000004864: D3B04006 1C209D06
	v_pk_mul_f32 v[4:5], v[4:5], v[60:61]                      // 00000000486C: D3B14004 18027904
	v_pk_mul_f32 v[6:7], v[6:7], v[62:63]                      // 000000004874: D3B14006 18027D06
	v_pk_mul_f32 v[4:5], v[4:5], s[60:61]                      // 00000000487C: D3B14004 18007904
	v_pk_mul_f32 v[6:7], v[6:7], s[60:61]                      // 000000004884: D3B14006 18007906
	v_exp_f32_e32 v4, v4                                       // 00000000488C: 7E084104
	v_exp_f32_e32 v5, v5                                       // 000000004890: 7E0A4105
	v_exp_f32_e32 v6, v6                                       // 000000004894: 7E0C4106
	v_exp_f32_e32 v7, v7                                       // 000000004898: 7E0E4107
	v_add_f32_e64 v4, v4, 1.0                                  // 00000000489C: D1010004 0001E504
	v_add_f32_e64 v5, v5, 1.0                                  // 0000000048A4: D1010005 0001E505
	v_add_f32_e64 v6, v6, 1.0                                  // 0000000048AC: D1010006 0001E506
	v_add_f32_e64 v7, v7, 1.0                                  // 0000000048B4: D1010007 0001E507
	v_rcp_f32_e32 v4, v4                                       // 0000000048BC: 7E084504
	v_rcp_f32_e32 v5, v5                                       // 0000000048C0: 7E0A4505
	v_rcp_f32_e32 v6, v6                                       // 0000000048C4: 7E0C4506
	v_rcp_f32_e32 v7, v7                                       // 0000000048C8: 7E0E4507
	v_mul_f32_e32 v60, v60, v4                                 // 0000000048CC: 0A78093C
	v_mul_f32_e32 v61, v61, v5                                 // 0000000048D0: 0A7A0B3D
	v_mul_f32_e32 v62, v62, v6                                 // 0000000048D4: 0A7C0D3E
	v_mul_f32_e32 v63, v63, v7                                 // 0000000048D8: 0A7E0F3F
	v_mul_f32_e32 v60, v60, v124                               // 0000000048DC: 0A78F93C
	v_mul_f32_e32 v61, v61, v125                               // 0000000048E0: 0A7AFB3D
	v_mul_f32_e32 v62, v62, v126                               // 0000000048E4: 0A7CFD3E
	v_mul_f32_e32 v63, v63, v127                               // 0000000048E8: 0A7EFF3F
	v_pk_mul_f32 v[4:5], v[64:65], v[64:65]                    // 0000000048EC: D3B14004 18028140
	v_pk_mul_f32 v[6:7], v[66:67], v[66:67]                    // 0000000048F4: D3B14006 18028542
	v_pk_fma_f32 v[4:5], v[4:5], s[78:79], v[8:9]              // 0000000048FC: D3B04004 1C209D04
	v_pk_fma_f32 v[6:7], v[6:7], s[78:79], v[8:9]              // 000000004904: D3B04006 1C209D06
	v_pk_mul_f32 v[4:5], v[4:5], v[64:65]                      // 00000000490C: D3B14004 18028104
	v_pk_mul_f32 v[6:7], v[6:7], v[66:67]                      // 000000004914: D3B14006 18028506
	v_pk_mul_f32 v[4:5], v[4:5], s[60:61]                      // 00000000491C: D3B14004 18007904
	v_pk_mul_f32 v[6:7], v[6:7], s[60:61]                      // 000000004924: D3B14006 18007906
	v_exp_f32_e32 v4, v4                                       // 00000000492C: 7E084104
	v_exp_f32_e32 v5, v5                                       // 000000004930: 7E0A4105
	v_exp_f32_e32 v6, v6                                       // 000000004934: 7E0C4106
	v_exp_f32_e32 v7, v7                                       // 000000004938: 7E0E4107
	v_add_f32_e64 v4, v4, 1.0                                  // 00000000493C: D1010004 0001E504
	v_add_f32_e64 v5, v5, 1.0                                  // 000000004944: D1010005 0001E505
	v_add_f32_e64 v6, v6, 1.0                                  // 00000000494C: D1010006 0001E506
	v_add_f32_e64 v7, v7, 1.0                                  // 000000004954: D1010007 0001E507
	v_rcp_f32_e32 v4, v4                                       // 00000000495C: 7E084504
	v_rcp_f32_e32 v5, v5                                       // 000000004960: 7E0A4505
	v_rcp_f32_e32 v6, v6                                       // 000000004964: 7E0C4506
	v_rcp_f32_e32 v7, v7                                       // 000000004968: 7E0E4507
	v_mul_f32_e32 v64, v64, v4                                 // 00000000496C: 0A800940
	v_mul_f32_e32 v65, v65, v5                                 // 000000004970: 0A820B41
	v_mul_f32_e32 v66, v66, v6                                 // 000000004974: 0A840D42
	v_mul_f32_e32 v67, v67, v7                                 // 000000004978: 0A860F43
	v_mul_f32_e32 v64, v64, v128                               // 00000000497C: 0A810140
	v_mul_f32_e32 v65, v65, v129                               // 000000004980: 0A830341
	v_mul_f32_e32 v66, v66, v130                               // 000000004984: 0A850542
	v_mul_f32_e32 v67, v67, v131                               // 000000004988: 0A870743
	v_pk_mul_f32 v[4:5], v[68:69], v[68:69]                    // 00000000498C: D3B14004 18028944
	v_pk_mul_f32 v[6:7], v[70:71], v[70:71]                    // 000000004994: D3B14006 18028D46
	v_pk_fma_f32 v[4:5], v[4:5], s[78:79], v[8:9]              // 00000000499C: D3B04004 1C209D04
	v_pk_fma_f32 v[6:7], v[6:7], s[78:79], v[8:9]              // 0000000049A4: D3B04006 1C209D06
	v_pk_mul_f32 v[4:5], v[4:5], v[68:69]                      // 0000000049AC: D3B14004 18028904
	v_pk_mul_f32 v[6:7], v[6:7], v[70:71]                      // 0000000049B4: D3B14006 18028D06
	v_pk_mul_f32 v[4:5], v[4:5], s[60:61]                      // 0000000049BC: D3B14004 18007904
	v_pk_mul_f32 v[6:7], v[6:7], s[60:61]                      // 0000000049C4: D3B14006 18007906
	v_exp_f32_e32 v4, v4                                       // 0000000049CC: 7E084104
	v_exp_f32_e32 v5, v5                                       // 0000000049D0: 7E0A4105
	v_exp_f32_e32 v6, v6                                       // 0000000049D4: 7E0C4106
	v_exp_f32_e32 v7, v7                                       // 0000000049D8: 7E0E4107
	v_add_f32_e64 v4, v4, 1.0                                  // 0000000049DC: D1010004 0001E504
	v_add_f32_e64 v5, v5, 1.0                                  // 0000000049E4: D1010005 0001E505
	v_add_f32_e64 v6, v6, 1.0                                  // 0000000049EC: D1010006 0001E506
	v_add_f32_e64 v7, v7, 1.0                                  // 0000000049F4: D1010007 0001E507
	v_rcp_f32_e32 v4, v4                                       // 0000000049FC: 7E084504
	v_rcp_f32_e32 v5, v5                                       // 000000004A00: 7E0A4505
	v_rcp_f32_e32 v6, v6                                       // 000000004A04: 7E0C4506
	v_rcp_f32_e32 v7, v7                                       // 000000004A08: 7E0E4507
	v_mul_f32_e32 v68, v68, v4                                 // 000000004A0C: 0A880944
	v_mul_f32_e32 v69, v69, v5                                 // 000000004A10: 0A8A0B45
	v_mul_f32_e32 v70, v70, v6                                 // 000000004A14: 0A8C0D46
	v_mul_f32_e32 v71, v71, v7                                 // 000000004A18: 0A8E0F47
	v_mul_f32_e32 v68, v68, v132                               // 000000004A1C: 0A890944
	v_mul_f32_e32 v69, v69, v133                               // 000000004A20: 0A8B0B45
	v_mul_f32_e32 v70, v70, v134                               // 000000004A24: 0A8D0D46
	v_mul_f32_e32 v71, v71, v135                               // 000000004A28: 0A8F0F47
	v_pk_mul_f32 v[4:5], v[72:73], v[72:73]                    // 000000004A2C: D3B14004 18029148
	v_pk_mul_f32 v[6:7], v[74:75], v[74:75]                    // 000000004A34: D3B14006 1802954A
	v_pk_fma_f32 v[4:5], v[4:5], s[78:79], v[8:9]              // 000000004A3C: D3B04004 1C209D04
	v_pk_fma_f32 v[6:7], v[6:7], s[78:79], v[8:9]              // 000000004A44: D3B04006 1C209D06
	v_pk_mul_f32 v[4:5], v[4:5], v[72:73]                      // 000000004A4C: D3B14004 18029104
	v_pk_mul_f32 v[6:7], v[6:7], v[74:75]                      // 000000004A54: D3B14006 18029506
	v_pk_mul_f32 v[4:5], v[4:5], s[60:61]                      // 000000004A5C: D3B14004 18007904
	v_pk_mul_f32 v[6:7], v[6:7], s[60:61]                      // 000000004A64: D3B14006 18007906
	v_exp_f32_e32 v4, v4                                       // 000000004A6C: 7E084104
	v_exp_f32_e32 v5, v5                                       // 000000004A70: 7E0A4105
	v_exp_f32_e32 v6, v6                                       // 000000004A74: 7E0C4106
	v_exp_f32_e32 v7, v7                                       // 000000004A78: 7E0E4107
	v_add_f32_e64 v4, v4, 1.0                                  // 000000004A7C: D1010004 0001E504
	v_add_f32_e64 v5, v5, 1.0                                  // 000000004A84: D1010005 0001E505
	v_add_f32_e64 v6, v6, 1.0                                  // 000000004A8C: D1010006 0001E506
	v_add_f32_e64 v7, v7, 1.0                                  // 000000004A94: D1010007 0001E507
	v_rcp_f32_e32 v4, v4                                       // 000000004A9C: 7E084504
	v_rcp_f32_e32 v5, v5                                       // 000000004AA0: 7E0A4505
	v_rcp_f32_e32 v6, v6                                       // 000000004AA4: 7E0C4506
	v_rcp_f32_e32 v7, v7                                       // 000000004AA8: 7E0E4507
	v_mul_f32_e32 v72, v72, v4                                 // 000000004AAC: 0A900948
	v_mul_f32_e32 v73, v73, v5                                 // 000000004AB0: 0A920B49
	v_mul_f32_e32 v74, v74, v6                                 // 000000004AB4: 0A940D4A
	v_mul_f32_e32 v75, v75, v7                                 // 000000004AB8: 0A960F4B
	v_mul_f32_e32 v72, v72, v136                               // 000000004ABC: 0A911148
	v_mul_f32_e32 v73, v73, v137                               // 000000004AC0: 0A931349
	v_mul_f32_e32 v74, v74, v138                               // 000000004AC4: 0A95154A
	v_mul_f32_e32 v75, v75, v139                               // 000000004AC8: 0A97174B
	v_pk_mul_f32 v[4:5], v[76:77], v[76:77]                    // 000000004ACC: D3B14004 1802994C
	v_pk_mul_f32 v[6:7], v[78:79], v[78:79]                    // 000000004AD4: D3B14006 18029D4E
	v_pk_fma_f32 v[4:5], v[4:5], s[78:79], v[8:9]              // 000000004ADC: D3B04004 1C209D04
	v_pk_fma_f32 v[6:7], v[6:7], s[78:79], v[8:9]              // 000000004AE4: D3B04006 1C209D06
	v_pk_mul_f32 v[4:5], v[4:5], v[76:77]                      // 000000004AEC: D3B14004 18029904
	v_pk_mul_f32 v[6:7], v[6:7], v[78:79]                      // 000000004AF4: D3B14006 18029D06
	v_pk_mul_f32 v[4:5], v[4:5], s[60:61]                      // 000000004AFC: D3B14004 18007904
	v_pk_mul_f32 v[6:7], v[6:7], s[60:61]                      // 000000004B04: D3B14006 18007906
	v_exp_f32_e32 v4, v4                                       // 000000004B0C: 7E084104
	v_exp_f32_e32 v5, v5                                       // 000000004B10: 7E0A4105
	v_exp_f32_e32 v6, v6                                       // 000000004B14: 7E0C4106
	v_exp_f32_e32 v7, v7                                       // 000000004B18: 7E0E4107
	v_add_f32_e64 v4, v4, 1.0                                  // 000000004B1C: D1010004 0001E504
	v_add_f32_e64 v5, v5, 1.0                                  // 000000004B24: D1010005 0001E505
	v_add_f32_e64 v6, v6, 1.0                                  // 000000004B2C: D1010006 0001E506
	v_add_f32_e64 v7, v7, 1.0                                  // 000000004B34: D1010007 0001E507
	v_rcp_f32_e32 v4, v4                                       // 000000004B3C: 7E084504
	v_rcp_f32_e32 v5, v5                                       // 000000004B40: 7E0A4505
	v_rcp_f32_e32 v6, v6                                       // 000000004B44: 7E0C4506
	v_rcp_f32_e32 v7, v7                                       // 000000004B48: 7E0E4507
	v_mul_f32_e32 v76, v76, v4                                 // 000000004B4C: 0A98094C
	v_mul_f32_e32 v77, v77, v5                                 // 000000004B50: 0A9A0B4D
	v_mul_f32_e32 v78, v78, v6                                 // 000000004B54: 0A9C0D4E
	v_mul_f32_e32 v79, v79, v7                                 // 000000004B58: 0A9E0F4F
	v_mul_f32_e32 v76, v76, v140                               // 000000004B5C: 0A99194C
	v_mul_f32_e32 v77, v77, v141                               // 000000004B60: 0A9B1B4D
	v_mul_f32_e32 v78, v78, v142                               // 000000004B64: 0A9D1D4E
	v_mul_f32_e32 v79, v79, v143                               // 000000004B68: 0A9F1F4F
	v_pk_mul_f32 v[4:5], v[80:81], v[80:81]                    // 000000004B6C: D3B14004 1802A150
	v_pk_mul_f32 v[6:7], v[82:83], v[82:83]                    // 000000004B74: D3B14006 1802A552
	v_pk_fma_f32 v[4:5], v[4:5], s[78:79], v[8:9]              // 000000004B7C: D3B04004 1C209D04
	v_pk_fma_f32 v[6:7], v[6:7], s[78:79], v[8:9]              // 000000004B84: D3B04006 1C209D06
	v_pk_mul_f32 v[4:5], v[4:5], v[80:81]                      // 000000004B8C: D3B14004 1802A104
	v_pk_mul_f32 v[6:7], v[6:7], v[82:83]                      // 000000004B94: D3B14006 1802A506
	v_pk_mul_f32 v[4:5], v[4:5], s[60:61]                      // 000000004B9C: D3B14004 18007904
	v_pk_mul_f32 v[6:7], v[6:7], s[60:61]                      // 000000004BA4: D3B14006 18007906
	v_exp_f32_e32 v4, v4                                       // 000000004BAC: 7E084104
	v_exp_f32_e32 v5, v5                                       // 000000004BB0: 7E0A4105
	v_exp_f32_e32 v6, v6                                       // 000000004BB4: 7E0C4106
	v_exp_f32_e32 v7, v7                                       // 000000004BB8: 7E0E4107
	v_add_f32_e64 v4, v4, 1.0                                  // 000000004BBC: D1010004 0001E504
	v_add_f32_e64 v5, v5, 1.0                                  // 000000004BC4: D1010005 0001E505
	v_add_f32_e64 v6, v6, 1.0                                  // 000000004BCC: D1010006 0001E506
	v_add_f32_e64 v7, v7, 1.0                                  // 000000004BD4: D1010007 0001E507
	v_rcp_f32_e32 v4, v4                                       // 000000004BDC: 7E084504
	v_rcp_f32_e32 v5, v5                                       // 000000004BE0: 7E0A4505
	v_rcp_f32_e32 v6, v6                                       // 000000004BE4: 7E0C4506
	v_rcp_f32_e32 v7, v7                                       // 000000004BE8: 7E0E4507
	v_mul_f32_e32 v80, v80, v4                                 // 000000004BEC: 0AA00950
	v_mul_f32_e32 v81, v81, v5                                 // 000000004BF0: 0AA20B51
	v_mul_f32_e32 v82, v82, v6                                 // 000000004BF4: 0AA40D52
	v_mul_f32_e32 v83, v83, v7                                 // 000000004BF8: 0AA60F53
	v_mul_f32_e32 v80, v80, v144                               // 000000004BFC: 0AA12150
	v_mul_f32_e32 v81, v81, v145                               // 000000004C00: 0AA32351
	v_mul_f32_e32 v82, v82, v146                               // 000000004C04: 0AA52552
	v_mul_f32_e32 v83, v83, v147                               // 000000004C08: 0AA72753
	v_pk_mul_f32 v[4:5], v[84:85], v[84:85]                    // 000000004C0C: D3B14004 1802A954
	v_pk_mul_f32 v[6:7], v[86:87], v[86:87]                    // 000000004C14: D3B14006 1802AD56
	v_pk_fma_f32 v[4:5], v[4:5], s[78:79], v[8:9]              // 000000004C1C: D3B04004 1C209D04
	v_pk_fma_f32 v[6:7], v[6:7], s[78:79], v[8:9]              // 000000004C24: D3B04006 1C209D06
	v_pk_mul_f32 v[4:5], v[4:5], v[84:85]                      // 000000004C2C: D3B14004 1802A904
	v_pk_mul_f32 v[6:7], v[6:7], v[86:87]                      // 000000004C34: D3B14006 1802AD06
	v_pk_mul_f32 v[4:5], v[4:5], s[60:61]                      // 000000004C3C: D3B14004 18007904
	v_pk_mul_f32 v[6:7], v[6:7], s[60:61]                      // 000000004C44: D3B14006 18007906
	v_exp_f32_e32 v4, v4                                       // 000000004C4C: 7E084104
	v_exp_f32_e32 v5, v5                                       // 000000004C50: 7E0A4105
	v_exp_f32_e32 v6, v6                                       // 000000004C54: 7E0C4106
	v_exp_f32_e32 v7, v7                                       // 000000004C58: 7E0E4107
	v_add_f32_e64 v4, v4, 1.0                                  // 000000004C5C: D1010004 0001E504
	v_add_f32_e64 v5, v5, 1.0                                  // 000000004C64: D1010005 0001E505
	v_add_f32_e64 v6, v6, 1.0                                  // 000000004C6C: D1010006 0001E506
	v_add_f32_e64 v7, v7, 1.0                                  // 000000004C74: D1010007 0001E507
	v_rcp_f32_e32 v4, v4                                       // 000000004C7C: 7E084504
	v_rcp_f32_e32 v5, v5                                       // 000000004C80: 7E0A4505
	v_rcp_f32_e32 v6, v6                                       // 000000004C84: 7E0C4506
	v_rcp_f32_e32 v7, v7                                       // 000000004C88: 7E0E4507
	v_mul_f32_e32 v84, v84, v4                                 // 000000004C8C: 0AA80954
	v_mul_f32_e32 v85, v85, v5                                 // 000000004C90: 0AAA0B55
	v_mul_f32_e32 v86, v86, v6                                 // 000000004C94: 0AAC0D56
	v_mul_f32_e32 v87, v87, v7                                 // 000000004C98: 0AAE0F57
	v_mul_f32_e32 v84, v84, v148                               // 000000004C9C: 0AA92954
	v_mul_f32_e32 v85, v85, v149                               // 000000004CA0: 0AAB2B55
	v_mul_f32_e32 v86, v86, v150                               // 000000004CA4: 0AAD2D56
	v_mul_f32_e32 v87, v87, v151                               // 000000004CA8: 0AAF2F57
	v_pk_mul_f32 v[4:5], v[88:89], v[88:89]                    // 000000004CAC: D3B14004 1802B158
	v_pk_mul_f32 v[6:7], v[90:91], v[90:91]                    // 000000004CB4: D3B14006 1802B55A
	v_pk_fma_f32 v[4:5], v[4:5], s[78:79], v[8:9]              // 000000004CBC: D3B04004 1C209D04
	v_pk_fma_f32 v[6:7], v[6:7], s[78:79], v[8:9]              // 000000004CC4: D3B04006 1C209D06
	v_pk_mul_f32 v[4:5], v[4:5], v[88:89]                      // 000000004CCC: D3B14004 1802B104
	v_pk_mul_f32 v[6:7], v[6:7], v[90:91]                      // 000000004CD4: D3B14006 1802B506
	v_pk_mul_f32 v[4:5], v[4:5], s[60:61]                      // 000000004CDC: D3B14004 18007904
	v_pk_mul_f32 v[6:7], v[6:7], s[60:61]                      // 000000004CE4: D3B14006 18007906
	v_exp_f32_e32 v4, v4                                       // 000000004CEC: 7E084104
	v_exp_f32_e32 v5, v5                                       // 000000004CF0: 7E0A4105
	v_exp_f32_e32 v6, v6                                       // 000000004CF4: 7E0C4106
	v_exp_f32_e32 v7, v7                                       // 000000004CF8: 7E0E4107
	v_add_f32_e64 v4, v4, 1.0                                  // 000000004CFC: D1010004 0001E504
	v_add_f32_e64 v5, v5, 1.0                                  // 000000004D04: D1010005 0001E505
	v_add_f32_e64 v6, v6, 1.0                                  // 000000004D0C: D1010006 0001E506
	v_add_f32_e64 v7, v7, 1.0                                  // 000000004D14: D1010007 0001E507
	v_rcp_f32_e32 v4, v4                                       // 000000004D1C: 7E084504
	v_rcp_f32_e32 v5, v5                                       // 000000004D20: 7E0A4505
	v_rcp_f32_e32 v6, v6                                       // 000000004D24: 7E0C4506
	v_rcp_f32_e32 v7, v7                                       // 000000004D28: 7E0E4507
	v_mul_f32_e32 v88, v88, v4                                 // 000000004D2C: 0AB00958
	v_mul_f32_e32 v89, v89, v5                                 // 000000004D30: 0AB20B59
	v_mul_f32_e32 v90, v90, v6                                 // 000000004D34: 0AB40D5A
	v_mul_f32_e32 v91, v91, v7                                 // 000000004D38: 0AB60F5B
	v_mul_f32_e32 v88, v88, v152                               // 000000004D3C: 0AB13158
	v_mul_f32_e32 v89, v89, v153                               // 000000004D40: 0AB33359
	v_mul_f32_e32 v90, v90, v154                               // 000000004D44: 0AB5355A
	v_mul_f32_e32 v91, v91, v155                               // 000000004D48: 0AB7375B
	v_pk_mul_f32 v[4:5], v[92:93], v[92:93]                    // 000000004D4C: D3B14004 1802B95C
	v_pk_mul_f32 v[6:7], v[94:95], v[94:95]                    // 000000004D54: D3B14006 1802BD5E
	v_pk_fma_f32 v[4:5], v[4:5], s[78:79], v[8:9]              // 000000004D5C: D3B04004 1C209D04
	v_pk_fma_f32 v[6:7], v[6:7], s[78:79], v[8:9]              // 000000004D64: D3B04006 1C209D06
	v_pk_mul_f32 v[4:5], v[4:5], v[92:93]                      // 000000004D6C: D3B14004 1802B904
	v_pk_mul_f32 v[6:7], v[6:7], v[94:95]                      // 000000004D74: D3B14006 1802BD06
	v_pk_mul_f32 v[4:5], v[4:5], s[60:61]                      // 000000004D7C: D3B14004 18007904
	v_pk_mul_f32 v[6:7], v[6:7], s[60:61]                      // 000000004D84: D3B14006 18007906
	v_exp_f32_e32 v4, v4                                       // 000000004D8C: 7E084104
	v_exp_f32_e32 v5, v5                                       // 000000004D90: 7E0A4105
	v_exp_f32_e32 v6, v6                                       // 000000004D94: 7E0C4106
	v_exp_f32_e32 v7, v7                                       // 000000004D98: 7E0E4107
	v_add_f32_e64 v4, v4, 1.0                                  // 000000004D9C: D1010004 0001E504
	v_add_f32_e64 v5, v5, 1.0                                  // 000000004DA4: D1010005 0001E505
	v_add_f32_e64 v6, v6, 1.0                                  // 000000004DAC: D1010006 0001E506
	v_add_f32_e64 v7, v7, 1.0                                  // 000000004DB4: D1010007 0001E507
	v_rcp_f32_e32 v4, v4                                       // 000000004DBC: 7E084504
	v_rcp_f32_e32 v5, v5                                       // 000000004DC0: 7E0A4505
	v_rcp_f32_e32 v6, v6                                       // 000000004DC4: 7E0C4506
	v_rcp_f32_e32 v7, v7                                       // 000000004DC8: 7E0E4507
	v_mul_f32_e32 v92, v92, v4                                 // 000000004DCC: 0AB8095C
	v_mul_f32_e32 v93, v93, v5                                 // 000000004DD0: 0ABA0B5D
	v_mul_f32_e32 v94, v94, v6                                 // 000000004DD4: 0ABC0D5E
	v_mul_f32_e32 v95, v95, v7                                 // 000000004DD8: 0ABE0F5F
	v_mul_f32_e32 v92, v92, v156                               // 000000004DDC: 0AB9395C
	v_mul_f32_e32 v93, v93, v157                               // 000000004DE0: 0ABB3B5D
	v_mul_f32_e32 v94, v94, v158                               // 000000004DE4: 0ABD3D5E
	v_mul_f32_e32 v95, v95, v159                               // 000000004DE8: 0ABF3F5F
	v_pk_mul_f32 v[4:5], v[96:97], v[96:97]                    // 000000004DEC: D3B14004 1802C160
	v_pk_mul_f32 v[6:7], v[98:99], v[98:99]                    // 000000004DF4: D3B14006 1802C562
	v_pk_fma_f32 v[4:5], v[4:5], s[78:79], v[8:9]              // 000000004DFC: D3B04004 1C209D04
	v_pk_fma_f32 v[6:7], v[6:7], s[78:79], v[8:9]              // 000000004E04: D3B04006 1C209D06
	v_pk_mul_f32 v[4:5], v[4:5], v[96:97]                      // 000000004E0C: D3B14004 1802C104
	v_pk_mul_f32 v[6:7], v[6:7], v[98:99]                      // 000000004E14: D3B14006 1802C506
	v_pk_mul_f32 v[4:5], v[4:5], s[60:61]                      // 000000004E1C: D3B14004 18007904
	v_pk_mul_f32 v[6:7], v[6:7], s[60:61]                      // 000000004E24: D3B14006 18007906
	v_exp_f32_e32 v4, v4                                       // 000000004E2C: 7E084104
	v_exp_f32_e32 v5, v5                                       // 000000004E30: 7E0A4105
	v_exp_f32_e32 v6, v6                                       // 000000004E34: 7E0C4106
	v_exp_f32_e32 v7, v7                                       // 000000004E38: 7E0E4107
	v_add_f32_e64 v4, v4, 1.0                                  // 000000004E3C: D1010004 0001E504
	v_add_f32_e64 v5, v5, 1.0                                  // 000000004E44: D1010005 0001E505
	v_add_f32_e64 v6, v6, 1.0                                  // 000000004E4C: D1010006 0001E506
	v_add_f32_e64 v7, v7, 1.0                                  // 000000004E54: D1010007 0001E507
	v_rcp_f32_e32 v4, v4                                       // 000000004E5C: 7E084504
	v_rcp_f32_e32 v5, v5                                       // 000000004E60: 7E0A4505
	v_rcp_f32_e32 v6, v6                                       // 000000004E64: 7E0C4506
	v_rcp_f32_e32 v7, v7                                       // 000000004E68: 7E0E4507
	v_mul_f32_e32 v96, v96, v4                                 // 000000004E6C: 0AC00960
	v_mul_f32_e32 v97, v97, v5                                 // 000000004E70: 0AC20B61
	v_mul_f32_e32 v98, v98, v6                                 // 000000004E74: 0AC40D62
	v_mul_f32_e32 v99, v99, v7                                 // 000000004E78: 0AC60F63
	v_mul_f32_e32 v96, v96, v160                               // 000000004E7C: 0AC14160
	v_mul_f32_e32 v97, v97, v161                               // 000000004E80: 0AC34361
	v_mul_f32_e32 v98, v98, v162                               // 000000004E84: 0AC54562
	v_mul_f32_e32 v99, v99, v163                               // 000000004E88: 0AC74763
	v_pk_mul_f32 v[4:5], v[100:101], v[100:101]                // 000000004E8C: D3B14004 1802C964
	v_pk_mul_f32 v[6:7], v[102:103], v[102:103]                // 000000004E94: D3B14006 1802CD66
	v_pk_fma_f32 v[4:5], v[4:5], s[78:79], v[8:9]              // 000000004E9C: D3B04004 1C209D04
	v_pk_fma_f32 v[6:7], v[6:7], s[78:79], v[8:9]              // 000000004EA4: D3B04006 1C209D06
	v_pk_mul_f32 v[4:5], v[4:5], v[100:101]                    // 000000004EAC: D3B14004 1802C904
	v_pk_mul_f32 v[6:7], v[6:7], v[102:103]                    // 000000004EB4: D3B14006 1802CD06
	v_pk_mul_f32 v[4:5], v[4:5], s[60:61]                      // 000000004EBC: D3B14004 18007904
	v_pk_mul_f32 v[6:7], v[6:7], s[60:61]                      // 000000004EC4: D3B14006 18007906
	v_exp_f32_e32 v4, v4                                       // 000000004ECC: 7E084104
	v_exp_f32_e32 v5, v5                                       // 000000004ED0: 7E0A4105
	v_exp_f32_e32 v6, v6                                       // 000000004ED4: 7E0C4106
	v_exp_f32_e32 v7, v7                                       // 000000004ED8: 7E0E4107
	v_add_f32_e64 v4, v4, 1.0                                  // 000000004EDC: D1010004 0001E504
	v_add_f32_e64 v5, v5, 1.0                                  // 000000004EE4: D1010005 0001E505
	v_add_f32_e64 v6, v6, 1.0                                  // 000000004EEC: D1010006 0001E506
	v_add_f32_e64 v7, v7, 1.0                                  // 000000004EF4: D1010007 0001E507
	v_rcp_f32_e32 v4, v4                                       // 000000004EFC: 7E084504
	v_rcp_f32_e32 v5, v5                                       // 000000004F00: 7E0A4505
	v_rcp_f32_e32 v6, v6                                       // 000000004F04: 7E0C4506
	v_rcp_f32_e32 v7, v7                                       // 000000004F08: 7E0E4507
	v_mul_f32_e32 v100, v100, v4                               // 000000004F0C: 0AC80964
	v_mul_f32_e32 v101, v101, v5                               // 000000004F10: 0ACA0B65
	v_mul_f32_e32 v102, v102, v6                               // 000000004F14: 0ACC0D66
	v_mul_f32_e32 v103, v103, v7                               // 000000004F18: 0ACE0F67
	v_mul_f32_e32 v100, v100, v164                             // 000000004F1C: 0AC94964
	v_mul_f32_e32 v101, v101, v165                             // 000000004F20: 0ACB4B65
	v_mul_f32_e32 v102, v102, v166                             // 000000004F24: 0ACD4D66
	v_mul_f32_e32 v103, v103, v167                             // 000000004F28: 0ACF4F67
	v_pk_mul_f32 v[4:5], v[104:105], v[104:105]                // 000000004F2C: D3B14004 1802D168
	v_pk_mul_f32 v[6:7], v[106:107], v[106:107]                // 000000004F34: D3B14006 1802D56A
	v_pk_fma_f32 v[4:5], v[4:5], s[78:79], v[8:9]              // 000000004F3C: D3B04004 1C209D04
	v_pk_fma_f32 v[6:7], v[6:7], s[78:79], v[8:9]              // 000000004F44: D3B04006 1C209D06
	v_pk_mul_f32 v[4:5], v[4:5], v[104:105]                    // 000000004F4C: D3B14004 1802D104
	v_pk_mul_f32 v[6:7], v[6:7], v[106:107]                    // 000000004F54: D3B14006 1802D506
	v_pk_mul_f32 v[4:5], v[4:5], s[60:61]                      // 000000004F5C: D3B14004 18007904
	v_pk_mul_f32 v[6:7], v[6:7], s[60:61]                      // 000000004F64: D3B14006 18007906
	v_exp_f32_e32 v4, v4                                       // 000000004F6C: 7E084104
	v_exp_f32_e32 v5, v5                                       // 000000004F70: 7E0A4105
	v_exp_f32_e32 v6, v6                                       // 000000004F74: 7E0C4106
	v_exp_f32_e32 v7, v7                                       // 000000004F78: 7E0E4107
	v_add_f32_e64 v4, v4, 1.0                                  // 000000004F7C: D1010004 0001E504
	v_add_f32_e64 v5, v5, 1.0                                  // 000000004F84: D1010005 0001E505
	v_add_f32_e64 v6, v6, 1.0                                  // 000000004F8C: D1010006 0001E506
	v_add_f32_e64 v7, v7, 1.0                                  // 000000004F94: D1010007 0001E507
	v_rcp_f32_e32 v4, v4                                       // 000000004F9C: 7E084504
	v_rcp_f32_e32 v5, v5                                       // 000000004FA0: 7E0A4505
	v_rcp_f32_e32 v6, v6                                       // 000000004FA4: 7E0C4506
	v_rcp_f32_e32 v7, v7                                       // 000000004FA8: 7E0E4507
	v_mul_f32_e32 v104, v104, v4                               // 000000004FAC: 0AD00968
	v_mul_f32_e32 v105, v105, v5                               // 000000004FB0: 0AD20B69
	v_mul_f32_e32 v106, v106, v6                               // 000000004FB4: 0AD40D6A
	v_mul_f32_e32 v107, v107, v7                               // 000000004FB8: 0AD60F6B
	v_mul_f32_e32 v104, v104, v168                             // 000000004FBC: 0AD15168
	v_mul_f32_e32 v105, v105, v169                             // 000000004FC0: 0AD35369
	v_mul_f32_e32 v106, v106, v170                             // 000000004FC4: 0AD5556A
	v_mul_f32_e32 v107, v107, v171                             // 000000004FC8: 0AD7576B
	v_pk_mul_f32 v[4:5], v[108:109], v[108:109]                // 000000004FCC: D3B14004 1802D96C
	v_pk_mul_f32 v[6:7], v[110:111], v[110:111]                // 000000004FD4: D3B14006 1802DD6E
	v_pk_fma_f32 v[4:5], v[4:5], s[78:79], v[8:9]              // 000000004FDC: D3B04004 1C209D04
	v_pk_fma_f32 v[6:7], v[6:7], s[78:79], v[8:9]              // 000000004FE4: D3B04006 1C209D06
	v_pk_mul_f32 v[4:5], v[4:5], v[108:109]                    // 000000004FEC: D3B14004 1802D904
	v_pk_mul_f32 v[6:7], v[6:7], v[110:111]                    // 000000004FF4: D3B14006 1802DD06
	v_pk_mul_f32 v[4:5], v[4:5], s[60:61]                      // 000000004FFC: D3B14004 18007904
	v_pk_mul_f32 v[6:7], v[6:7], s[60:61]                      // 000000005004: D3B14006 18007906
	v_exp_f32_e32 v4, v4                                       // 00000000500C: 7E084104
	v_exp_f32_e32 v5, v5                                       // 000000005010: 7E0A4105
	v_exp_f32_e32 v6, v6                                       // 000000005014: 7E0C4106
	v_exp_f32_e32 v7, v7                                       // 000000005018: 7E0E4107
	v_add_f32_e64 v4, v4, 1.0                                  // 00000000501C: D1010004 0001E504
	v_add_f32_e64 v5, v5, 1.0                                  // 000000005024: D1010005 0001E505
	v_add_f32_e64 v6, v6, 1.0                                  // 00000000502C: D1010006 0001E506
	v_add_f32_e64 v7, v7, 1.0                                  // 000000005034: D1010007 0001E507
	v_rcp_f32_e32 v4, v4                                       // 00000000503C: 7E084504
	v_rcp_f32_e32 v5, v5                                       // 000000005040: 7E0A4505
	v_rcp_f32_e32 v6, v6                                       // 000000005044: 7E0C4506
	v_rcp_f32_e32 v7, v7                                       // 000000005048: 7E0E4507
	v_mul_f32_e32 v108, v108, v4                               // 00000000504C: 0AD8096C
	v_mul_f32_e32 v109, v109, v5                               // 000000005050: 0ADA0B6D
	v_mul_f32_e32 v110, v110, v6                               // 000000005054: 0ADC0D6E
	v_mul_f32_e32 v111, v111, v7                               // 000000005058: 0ADE0F6F
	v_mul_f32_e32 v108, v108, v172                             // 00000000505C: 0AD9596C
	v_mul_f32_e32 v109, v109, v173                             // 000000005060: 0ADB5B6D
	v_mul_f32_e32 v110, v110, v174                             // 000000005064: 0ADD5D6E
	v_mul_f32_e32 v111, v111, v175                             // 000000005068: 0ADF5F6F
	v_pk_mul_f32 v[4:5], v[112:113], v[112:113]                // 00000000506C: D3B14004 1802E170
	v_pk_mul_f32 v[6:7], v[114:115], v[114:115]                // 000000005074: D3B14006 1802E572
	v_pk_fma_f32 v[4:5], v[4:5], s[78:79], v[8:9]              // 00000000507C: D3B04004 1C209D04
	v_pk_fma_f32 v[6:7], v[6:7], s[78:79], v[8:9]              // 000000005084: D3B04006 1C209D06
	v_pk_mul_f32 v[4:5], v[4:5], v[112:113]                    // 00000000508C: D3B14004 1802E104
	v_pk_mul_f32 v[6:7], v[6:7], v[114:115]                    // 000000005094: D3B14006 1802E506
	v_pk_mul_f32 v[4:5], v[4:5], s[60:61]                      // 00000000509C: D3B14004 18007904
	v_pk_mul_f32 v[6:7], v[6:7], s[60:61]                      // 0000000050A4: D3B14006 18007906
	v_exp_f32_e32 v4, v4                                       // 0000000050AC: 7E084104
	v_exp_f32_e32 v5, v5                                       // 0000000050B0: 7E0A4105
	v_exp_f32_e32 v6, v6                                       // 0000000050B4: 7E0C4106
	v_exp_f32_e32 v7, v7                                       // 0000000050B8: 7E0E4107
	v_add_f32_e64 v4, v4, 1.0                                  // 0000000050BC: D1010004 0001E504
	v_add_f32_e64 v5, v5, 1.0                                  // 0000000050C4: D1010005 0001E505
	v_add_f32_e64 v6, v6, 1.0                                  // 0000000050CC: D1010006 0001E506
	v_add_f32_e64 v7, v7, 1.0                                  // 0000000050D4: D1010007 0001E507
	v_rcp_f32_e32 v4, v4                                       // 0000000050DC: 7E084504
	v_rcp_f32_e32 v5, v5                                       // 0000000050E0: 7E0A4505
	v_rcp_f32_e32 v6, v6                                       // 0000000050E4: 7E0C4506
	v_rcp_f32_e32 v7, v7                                       // 0000000050E8: 7E0E4507
	v_mul_f32_e32 v112, v112, v4                               // 0000000050EC: 0AE00970
	v_mul_f32_e32 v113, v113, v5                               // 0000000050F0: 0AE20B71
	v_mul_f32_e32 v114, v114, v6                               // 0000000050F4: 0AE40D72
	v_mul_f32_e32 v115, v115, v7                               // 0000000050F8: 0AE60F73
	v_mul_f32_e32 v112, v112, v176                             // 0000000050FC: 0AE16170
	v_mul_f32_e32 v113, v113, v177                             // 000000005100: 0AE36371
	v_mul_f32_e32 v114, v114, v178                             // 000000005104: 0AE56572
	v_mul_f32_e32 v115, v115, v179                             // 000000005108: 0AE76773
	s_branch label_0BC4                                        // 00000000510C: BF820200

0000000000005110 <label_09C4>:
	v_mul_f32_e64 v4, -v52, s6                                 // 000000005110: D1050004 20000D34
	v_mul_f32_e64 v5, -v53, s6                                 // 000000005118: D1050005 20000D35
	v_mul_f32_e64 v6, -v54, s6                                 // 000000005120: D1050006 20000D36
	v_mul_f32_e64 v7, -v55, s6                                 // 000000005128: D1050007 20000D37
	v_exp_f32_e32 v4, v4                                       // 000000005130: 7E084104
	v_exp_f32_e32 v5, v5                                       // 000000005134: 7E0A4105
	v_exp_f32_e32 v6, v6                                       // 000000005138: 7E0C4106
	v_exp_f32_e32 v7, v7                                       // 00000000513C: 7E0E4107
	v_add_f32_e64 v4, v4, 1.0                                  // 000000005140: D1010004 0001E504
	v_add_f32_e64 v5, v5, 1.0                                  // 000000005148: D1010005 0001E505
	v_add_f32_e64 v6, v6, 1.0                                  // 000000005150: D1010006 0001E506
	v_add_f32_e64 v7, v7, 1.0                                  // 000000005158: D1010007 0001E507
	v_rcp_f32_e32 v4, v4                                       // 000000005160: 7E084504
	v_rcp_f32_e32 v5, v5                                       // 000000005164: 7E0A4505
	v_rcp_f32_e32 v6, v6                                       // 000000005168: 7E0C4506
	v_rcp_f32_e32 v7, v7                                       // 00000000516C: 7E0E4507
	v_mul_f32_e32 v52, v52, v4                                 // 000000005170: 0A680934
	v_mul_f32_e32 v53, v53, v5                                 // 000000005174: 0A6A0B35
	v_mul_f32_e32 v54, v54, v6                                 // 000000005178: 0A6C0D36
	v_mul_f32_e32 v55, v55, v7                                 // 00000000517C: 0A6E0F37
	v_mul_f32_e32 v52, v52, v116                               // 000000005180: 0A68E934
	v_mul_f32_e32 v53, v53, v117                               // 000000005184: 0A6AEB35
	v_mul_f32_e32 v54, v54, v118                               // 000000005188: 0A6CED36
	v_mul_f32_e32 v55, v55, v119                               // 00000000518C: 0A6EEF37
	v_mul_f32_e64 v4, -v56, s6                                 // 000000005190: D1050004 20000D38
	v_mul_f32_e64 v5, -v57, s6                                 // 000000005198: D1050005 20000D39
	v_mul_f32_e64 v6, -v58, s6                                 // 0000000051A0: D1050006 20000D3A
	v_mul_f32_e64 v7, -v59, s6                                 // 0000000051A8: D1050007 20000D3B
	v_exp_f32_e32 v4, v4                                       // 0000000051B0: 7E084104
	v_exp_f32_e32 v5, v5                                       // 0000000051B4: 7E0A4105
	v_exp_f32_e32 v6, v6                                       // 0000000051B8: 7E0C4106
	v_exp_f32_e32 v7, v7                                       // 0000000051BC: 7E0E4107
	v_add_f32_e64 v4, v4, 1.0                                  // 0000000051C0: D1010004 0001E504
	v_add_f32_e64 v5, v5, 1.0                                  // 0000000051C8: D1010005 0001E505
	v_add_f32_e64 v6, v6, 1.0                                  // 0000000051D0: D1010006 0001E506
	v_add_f32_e64 v7, v7, 1.0                                  // 0000000051D8: D1010007 0001E507
	v_rcp_f32_e32 v4, v4                                       // 0000000051E0: 7E084504
	v_rcp_f32_e32 v5, v5                                       // 0000000051E4: 7E0A4505
	v_rcp_f32_e32 v6, v6                                       // 0000000051E8: 7E0C4506
	v_rcp_f32_e32 v7, v7                                       // 0000000051EC: 7E0E4507
	v_mul_f32_e32 v56, v56, v4                                 // 0000000051F0: 0A700938
	v_mul_f32_e32 v57, v57, v5                                 // 0000000051F4: 0A720B39
	v_mul_f32_e32 v58, v58, v6                                 // 0000000051F8: 0A740D3A
	v_mul_f32_e32 v59, v59, v7                                 // 0000000051FC: 0A760F3B
	v_mul_f32_e32 v56, v56, v120                               // 000000005200: 0A70F138
	v_mul_f32_e32 v57, v57, v121                               // 000000005204: 0A72F339
	v_mul_f32_e32 v58, v58, v122                               // 000000005208: 0A74F53A
	v_mul_f32_e32 v59, v59, v123                               // 00000000520C: 0A76F73B
	v_mul_f32_e64 v4, -v60, s6                                 // 000000005210: D1050004 20000D3C
	v_mul_f32_e64 v5, -v61, s6                                 // 000000005218: D1050005 20000D3D
	v_mul_f32_e64 v6, -v62, s6                                 // 000000005220: D1050006 20000D3E
	v_mul_f32_e64 v7, -v63, s6                                 // 000000005228: D1050007 20000D3F
	v_exp_f32_e32 v4, v4                                       // 000000005230: 7E084104
	v_exp_f32_e32 v5, v5                                       // 000000005234: 7E0A4105
	v_exp_f32_e32 v6, v6                                       // 000000005238: 7E0C4106
	v_exp_f32_e32 v7, v7                                       // 00000000523C: 7E0E4107
	v_add_f32_e64 v4, v4, 1.0                                  // 000000005240: D1010004 0001E504
	v_add_f32_e64 v5, v5, 1.0                                  // 000000005248: D1010005 0001E505
	v_add_f32_e64 v6, v6, 1.0                                  // 000000005250: D1010006 0001E506
	v_add_f32_e64 v7, v7, 1.0                                  // 000000005258: D1010007 0001E507
	v_rcp_f32_e32 v4, v4                                       // 000000005260: 7E084504
	v_rcp_f32_e32 v5, v5                                       // 000000005264: 7E0A4505
	v_rcp_f32_e32 v6, v6                                       // 000000005268: 7E0C4506
	v_rcp_f32_e32 v7, v7                                       // 00000000526C: 7E0E4507
	v_mul_f32_e32 v60, v60, v4                                 // 000000005270: 0A78093C
	v_mul_f32_e32 v61, v61, v5                                 // 000000005274: 0A7A0B3D
	v_mul_f32_e32 v62, v62, v6                                 // 000000005278: 0A7C0D3E
	v_mul_f32_e32 v63, v63, v7                                 // 00000000527C: 0A7E0F3F
	v_mul_f32_e32 v60, v60, v124                               // 000000005280: 0A78F93C
	v_mul_f32_e32 v61, v61, v125                               // 000000005284: 0A7AFB3D
	v_mul_f32_e32 v62, v62, v126                               // 000000005288: 0A7CFD3E
	v_mul_f32_e32 v63, v63, v127                               // 00000000528C: 0A7EFF3F
	v_mul_f32_e64 v4, -v64, s6                                 // 000000005290: D1050004 20000D40
	v_mul_f32_e64 v5, -v65, s6                                 // 000000005298: D1050005 20000D41
	v_mul_f32_e64 v6, -v66, s6                                 // 0000000052A0: D1050006 20000D42
	v_mul_f32_e64 v7, -v67, s6                                 // 0000000052A8: D1050007 20000D43
	v_exp_f32_e32 v4, v4                                       // 0000000052B0: 7E084104
	v_exp_f32_e32 v5, v5                                       // 0000000052B4: 7E0A4105
	v_exp_f32_e32 v6, v6                                       // 0000000052B8: 7E0C4106
	v_exp_f32_e32 v7, v7                                       // 0000000052BC: 7E0E4107
	v_add_f32_e64 v4, v4, 1.0                                  // 0000000052C0: D1010004 0001E504
	v_add_f32_e64 v5, v5, 1.0                                  // 0000000052C8: D1010005 0001E505
	v_add_f32_e64 v6, v6, 1.0                                  // 0000000052D0: D1010006 0001E506
	v_add_f32_e64 v7, v7, 1.0                                  // 0000000052D8: D1010007 0001E507
	v_rcp_f32_e32 v4, v4                                       // 0000000052E0: 7E084504
	v_rcp_f32_e32 v5, v5                                       // 0000000052E4: 7E0A4505
	v_rcp_f32_e32 v6, v6                                       // 0000000052E8: 7E0C4506
	v_rcp_f32_e32 v7, v7                                       // 0000000052EC: 7E0E4507
	v_mul_f32_e32 v64, v64, v4                                 // 0000000052F0: 0A800940
	v_mul_f32_e32 v65, v65, v5                                 // 0000000052F4: 0A820B41
	v_mul_f32_e32 v66, v66, v6                                 // 0000000052F8: 0A840D42
	v_mul_f32_e32 v67, v67, v7                                 // 0000000052FC: 0A860F43
	v_mul_f32_e32 v64, v64, v128                               // 000000005300: 0A810140
	v_mul_f32_e32 v65, v65, v129                               // 000000005304: 0A830341
	v_mul_f32_e32 v66, v66, v130                               // 000000005308: 0A850542
	v_mul_f32_e32 v67, v67, v131                               // 00000000530C: 0A870743
	v_mul_f32_e64 v4, -v68, s6                                 // 000000005310: D1050004 20000D44
	v_mul_f32_e64 v5, -v69, s6                                 // 000000005318: D1050005 20000D45
	v_mul_f32_e64 v6, -v70, s6                                 // 000000005320: D1050006 20000D46
	v_mul_f32_e64 v7, -v71, s6                                 // 000000005328: D1050007 20000D47
	v_exp_f32_e32 v4, v4                                       // 000000005330: 7E084104
	v_exp_f32_e32 v5, v5                                       // 000000005334: 7E0A4105
	v_exp_f32_e32 v6, v6                                       // 000000005338: 7E0C4106
	v_exp_f32_e32 v7, v7                                       // 00000000533C: 7E0E4107
	v_add_f32_e64 v4, v4, 1.0                                  // 000000005340: D1010004 0001E504
	v_add_f32_e64 v5, v5, 1.0                                  // 000000005348: D1010005 0001E505
	v_add_f32_e64 v6, v6, 1.0                                  // 000000005350: D1010006 0001E506
	v_add_f32_e64 v7, v7, 1.0                                  // 000000005358: D1010007 0001E507
	v_rcp_f32_e32 v4, v4                                       // 000000005360: 7E084504
	v_rcp_f32_e32 v5, v5                                       // 000000005364: 7E0A4505
	v_rcp_f32_e32 v6, v6                                       // 000000005368: 7E0C4506
	v_rcp_f32_e32 v7, v7                                       // 00000000536C: 7E0E4507
	v_mul_f32_e32 v68, v68, v4                                 // 000000005370: 0A880944
	v_mul_f32_e32 v69, v69, v5                                 // 000000005374: 0A8A0B45
	v_mul_f32_e32 v70, v70, v6                                 // 000000005378: 0A8C0D46
	v_mul_f32_e32 v71, v71, v7                                 // 00000000537C: 0A8E0F47
	v_mul_f32_e32 v68, v68, v132                               // 000000005380: 0A890944
	v_mul_f32_e32 v69, v69, v133                               // 000000005384: 0A8B0B45
	v_mul_f32_e32 v70, v70, v134                               // 000000005388: 0A8D0D46
	v_mul_f32_e32 v71, v71, v135                               // 00000000538C: 0A8F0F47
	v_mul_f32_e64 v4, -v72, s6                                 // 000000005390: D1050004 20000D48
	v_mul_f32_e64 v5, -v73, s6                                 // 000000005398: D1050005 20000D49
	v_mul_f32_e64 v6, -v74, s6                                 // 0000000053A0: D1050006 20000D4A
	v_mul_f32_e64 v7, -v75, s6                                 // 0000000053A8: D1050007 20000D4B
	v_exp_f32_e32 v4, v4                                       // 0000000053B0: 7E084104
	v_exp_f32_e32 v5, v5                                       // 0000000053B4: 7E0A4105
	v_exp_f32_e32 v6, v6                                       // 0000000053B8: 7E0C4106
	v_exp_f32_e32 v7, v7                                       // 0000000053BC: 7E0E4107
	v_add_f32_e64 v4, v4, 1.0                                  // 0000000053C0: D1010004 0001E504
	v_add_f32_e64 v5, v5, 1.0                                  // 0000000053C8: D1010005 0001E505
	v_add_f32_e64 v6, v6, 1.0                                  // 0000000053D0: D1010006 0001E506
	v_add_f32_e64 v7, v7, 1.0                                  // 0000000053D8: D1010007 0001E507
	v_rcp_f32_e32 v4, v4                                       // 0000000053E0: 7E084504
	v_rcp_f32_e32 v5, v5                                       // 0000000053E4: 7E0A4505
	v_rcp_f32_e32 v6, v6                                       // 0000000053E8: 7E0C4506
	v_rcp_f32_e32 v7, v7                                       // 0000000053EC: 7E0E4507
	v_mul_f32_e32 v72, v72, v4                                 // 0000000053F0: 0A900948
	v_mul_f32_e32 v73, v73, v5                                 // 0000000053F4: 0A920B49
	v_mul_f32_e32 v74, v74, v6                                 // 0000000053F8: 0A940D4A
	v_mul_f32_e32 v75, v75, v7                                 // 0000000053FC: 0A960F4B
	v_mul_f32_e32 v72, v72, v136                               // 000000005400: 0A911148
	v_mul_f32_e32 v73, v73, v137                               // 000000005404: 0A931349
	v_mul_f32_e32 v74, v74, v138                               // 000000005408: 0A95154A
	v_mul_f32_e32 v75, v75, v139                               // 00000000540C: 0A97174B
	v_mul_f32_e64 v4, -v76, s6                                 // 000000005410: D1050004 20000D4C
	v_mul_f32_e64 v5, -v77, s6                                 // 000000005418: D1050005 20000D4D
	v_mul_f32_e64 v6, -v78, s6                                 // 000000005420: D1050006 20000D4E
	v_mul_f32_e64 v7, -v79, s6                                 // 000000005428: D1050007 20000D4F
	v_exp_f32_e32 v4, v4                                       // 000000005430: 7E084104
	v_exp_f32_e32 v5, v5                                       // 000000005434: 7E0A4105
	v_exp_f32_e32 v6, v6                                       // 000000005438: 7E0C4106
	v_exp_f32_e32 v7, v7                                       // 00000000543C: 7E0E4107
	v_add_f32_e64 v4, v4, 1.0                                  // 000000005440: D1010004 0001E504
	v_add_f32_e64 v5, v5, 1.0                                  // 000000005448: D1010005 0001E505
	v_add_f32_e64 v6, v6, 1.0                                  // 000000005450: D1010006 0001E506
	v_add_f32_e64 v7, v7, 1.0                                  // 000000005458: D1010007 0001E507
	v_rcp_f32_e32 v4, v4                                       // 000000005460: 7E084504
	v_rcp_f32_e32 v5, v5                                       // 000000005464: 7E0A4505
	v_rcp_f32_e32 v6, v6                                       // 000000005468: 7E0C4506
	v_rcp_f32_e32 v7, v7                                       // 00000000546C: 7E0E4507
	v_mul_f32_e32 v76, v76, v4                                 // 000000005470: 0A98094C
	v_mul_f32_e32 v77, v77, v5                                 // 000000005474: 0A9A0B4D
	v_mul_f32_e32 v78, v78, v6                                 // 000000005478: 0A9C0D4E
	v_mul_f32_e32 v79, v79, v7                                 // 00000000547C: 0A9E0F4F
	v_mul_f32_e32 v76, v76, v140                               // 000000005480: 0A99194C
	v_mul_f32_e32 v77, v77, v141                               // 000000005484: 0A9B1B4D
	v_mul_f32_e32 v78, v78, v142                               // 000000005488: 0A9D1D4E
	v_mul_f32_e32 v79, v79, v143                               // 00000000548C: 0A9F1F4F
	v_mul_f32_e64 v4, -v80, s6                                 // 000000005490: D1050004 20000D50
	v_mul_f32_e64 v5, -v81, s6                                 // 000000005498: D1050005 20000D51
	v_mul_f32_e64 v6, -v82, s6                                 // 0000000054A0: D1050006 20000D52
	v_mul_f32_e64 v7, -v83, s6                                 // 0000000054A8: D1050007 20000D53
	v_exp_f32_e32 v4, v4                                       // 0000000054B0: 7E084104
	v_exp_f32_e32 v5, v5                                       // 0000000054B4: 7E0A4105
	v_exp_f32_e32 v6, v6                                       // 0000000054B8: 7E0C4106
	v_exp_f32_e32 v7, v7                                       // 0000000054BC: 7E0E4107
	v_add_f32_e64 v4, v4, 1.0                                  // 0000000054C0: D1010004 0001E504
	v_add_f32_e64 v5, v5, 1.0                                  // 0000000054C8: D1010005 0001E505
	v_add_f32_e64 v6, v6, 1.0                                  // 0000000054D0: D1010006 0001E506
	v_add_f32_e64 v7, v7, 1.0                                  // 0000000054D8: D1010007 0001E507
	v_rcp_f32_e32 v4, v4                                       // 0000000054E0: 7E084504
	v_rcp_f32_e32 v5, v5                                       // 0000000054E4: 7E0A4505
	v_rcp_f32_e32 v6, v6                                       // 0000000054E8: 7E0C4506
	v_rcp_f32_e32 v7, v7                                       // 0000000054EC: 7E0E4507
	v_mul_f32_e32 v80, v80, v4                                 // 0000000054F0: 0AA00950
	v_mul_f32_e32 v81, v81, v5                                 // 0000000054F4: 0AA20B51
	v_mul_f32_e32 v82, v82, v6                                 // 0000000054F8: 0AA40D52
	v_mul_f32_e32 v83, v83, v7                                 // 0000000054FC: 0AA60F53
	v_mul_f32_e32 v80, v80, v144                               // 000000005500: 0AA12150
	v_mul_f32_e32 v81, v81, v145                               // 000000005504: 0AA32351
	v_mul_f32_e32 v82, v82, v146                               // 000000005508: 0AA52552
	v_mul_f32_e32 v83, v83, v147                               // 00000000550C: 0AA72753
	v_mul_f32_e64 v4, -v84, s6                                 // 000000005510: D1050004 20000D54
	v_mul_f32_e64 v5, -v85, s6                                 // 000000005518: D1050005 20000D55
	v_mul_f32_e64 v6, -v86, s6                                 // 000000005520: D1050006 20000D56
	v_mul_f32_e64 v7, -v87, s6                                 // 000000005528: D1050007 20000D57
	v_exp_f32_e32 v4, v4                                       // 000000005530: 7E084104
	v_exp_f32_e32 v5, v5                                       // 000000005534: 7E0A4105
	v_exp_f32_e32 v6, v6                                       // 000000005538: 7E0C4106
	v_exp_f32_e32 v7, v7                                       // 00000000553C: 7E0E4107
	v_add_f32_e64 v4, v4, 1.0                                  // 000000005540: D1010004 0001E504
	v_add_f32_e64 v5, v5, 1.0                                  // 000000005548: D1010005 0001E505
	v_add_f32_e64 v6, v6, 1.0                                  // 000000005550: D1010006 0001E506
	v_add_f32_e64 v7, v7, 1.0                                  // 000000005558: D1010007 0001E507
	v_rcp_f32_e32 v4, v4                                       // 000000005560: 7E084504
	v_rcp_f32_e32 v5, v5                                       // 000000005564: 7E0A4505
	v_rcp_f32_e32 v6, v6                                       // 000000005568: 7E0C4506
	v_rcp_f32_e32 v7, v7                                       // 00000000556C: 7E0E4507
	v_mul_f32_e32 v84, v84, v4                                 // 000000005570: 0AA80954
	v_mul_f32_e32 v85, v85, v5                                 // 000000005574: 0AAA0B55
	v_mul_f32_e32 v86, v86, v6                                 // 000000005578: 0AAC0D56
	v_mul_f32_e32 v87, v87, v7                                 // 00000000557C: 0AAE0F57
	v_mul_f32_e32 v84, v84, v148                               // 000000005580: 0AA92954
	v_mul_f32_e32 v85, v85, v149                               // 000000005584: 0AAB2B55
	v_mul_f32_e32 v86, v86, v150                               // 000000005588: 0AAD2D56
	v_mul_f32_e32 v87, v87, v151                               // 00000000558C: 0AAF2F57
	v_mul_f32_e64 v4, -v88, s6                                 // 000000005590: D1050004 20000D58
	v_mul_f32_e64 v5, -v89, s6                                 // 000000005598: D1050005 20000D59
	v_mul_f32_e64 v6, -v90, s6                                 // 0000000055A0: D1050006 20000D5A
	v_mul_f32_e64 v7, -v91, s6                                 // 0000000055A8: D1050007 20000D5B
	v_exp_f32_e32 v4, v4                                       // 0000000055B0: 7E084104
	v_exp_f32_e32 v5, v5                                       // 0000000055B4: 7E0A4105
	v_exp_f32_e32 v6, v6                                       // 0000000055B8: 7E0C4106
	v_exp_f32_e32 v7, v7                                       // 0000000055BC: 7E0E4107
	v_add_f32_e64 v4, v4, 1.0                                  // 0000000055C0: D1010004 0001E504
	v_add_f32_e64 v5, v5, 1.0                                  // 0000000055C8: D1010005 0001E505
	v_add_f32_e64 v6, v6, 1.0                                  // 0000000055D0: D1010006 0001E506
	v_add_f32_e64 v7, v7, 1.0                                  // 0000000055D8: D1010007 0001E507
	v_rcp_f32_e32 v4, v4                                       // 0000000055E0: 7E084504
	v_rcp_f32_e32 v5, v5                                       // 0000000055E4: 7E0A4505
	v_rcp_f32_e32 v6, v6                                       // 0000000055E8: 7E0C4506
	v_rcp_f32_e32 v7, v7                                       // 0000000055EC: 7E0E4507
	v_mul_f32_e32 v88, v88, v4                                 // 0000000055F0: 0AB00958
	v_mul_f32_e32 v89, v89, v5                                 // 0000000055F4: 0AB20B59
	v_mul_f32_e32 v90, v90, v6                                 // 0000000055F8: 0AB40D5A
	v_mul_f32_e32 v91, v91, v7                                 // 0000000055FC: 0AB60F5B
	v_mul_f32_e32 v88, v88, v152                               // 000000005600: 0AB13158
	v_mul_f32_e32 v89, v89, v153                               // 000000005604: 0AB33359
	v_mul_f32_e32 v90, v90, v154                               // 000000005608: 0AB5355A
	v_mul_f32_e32 v91, v91, v155                               // 00000000560C: 0AB7375B
	v_mul_f32_e64 v4, -v92, s6                                 // 000000005610: D1050004 20000D5C
	v_mul_f32_e64 v5, -v93, s6                                 // 000000005618: D1050005 20000D5D
	v_mul_f32_e64 v6, -v94, s6                                 // 000000005620: D1050006 20000D5E
	v_mul_f32_e64 v7, -v95, s6                                 // 000000005628: D1050007 20000D5F
	v_exp_f32_e32 v4, v4                                       // 000000005630: 7E084104
	v_exp_f32_e32 v5, v5                                       // 000000005634: 7E0A4105
	v_exp_f32_e32 v6, v6                                       // 000000005638: 7E0C4106
	v_exp_f32_e32 v7, v7                                       // 00000000563C: 7E0E4107
	v_add_f32_e64 v4, v4, 1.0                                  // 000000005640: D1010004 0001E504
	v_add_f32_e64 v5, v5, 1.0                                  // 000000005648: D1010005 0001E505
	v_add_f32_e64 v6, v6, 1.0                                  // 000000005650: D1010006 0001E506
	v_add_f32_e64 v7, v7, 1.0                                  // 000000005658: D1010007 0001E507
	v_rcp_f32_e32 v4, v4                                       // 000000005660: 7E084504
	v_rcp_f32_e32 v5, v5                                       // 000000005664: 7E0A4505
	v_rcp_f32_e32 v6, v6                                       // 000000005668: 7E0C4506
	v_rcp_f32_e32 v7, v7                                       // 00000000566C: 7E0E4507
	v_mul_f32_e32 v92, v92, v4                                 // 000000005670: 0AB8095C
	v_mul_f32_e32 v93, v93, v5                                 // 000000005674: 0ABA0B5D
	v_mul_f32_e32 v94, v94, v6                                 // 000000005678: 0ABC0D5E
	v_mul_f32_e32 v95, v95, v7                                 // 00000000567C: 0ABE0F5F
	v_mul_f32_e32 v92, v92, v156                               // 000000005680: 0AB9395C
	v_mul_f32_e32 v93, v93, v157                               // 000000005684: 0ABB3B5D
	v_mul_f32_e32 v94, v94, v158                               // 000000005688: 0ABD3D5E
	v_mul_f32_e32 v95, v95, v159                               // 00000000568C: 0ABF3F5F
	v_mul_f32_e64 v4, -v96, s6                                 // 000000005690: D1050004 20000D60
	v_mul_f32_e64 v5, -v97, s6                                 // 000000005698: D1050005 20000D61
	v_mul_f32_e64 v6, -v98, s6                                 // 0000000056A0: D1050006 20000D62
	v_mul_f32_e64 v7, -v99, s6                                 // 0000000056A8: D1050007 20000D63
	v_exp_f32_e32 v4, v4                                       // 0000000056B0: 7E084104
	v_exp_f32_e32 v5, v5                                       // 0000000056B4: 7E0A4105
	v_exp_f32_e32 v6, v6                                       // 0000000056B8: 7E0C4106
	v_exp_f32_e32 v7, v7                                       // 0000000056BC: 7E0E4107
	v_add_f32_e64 v4, v4, 1.0                                  // 0000000056C0: D1010004 0001E504
	v_add_f32_e64 v5, v5, 1.0                                  // 0000000056C8: D1010005 0001E505
	v_add_f32_e64 v6, v6, 1.0                                  // 0000000056D0: D1010006 0001E506
	v_add_f32_e64 v7, v7, 1.0                                  // 0000000056D8: D1010007 0001E507
	v_rcp_f32_e32 v4, v4                                       // 0000000056E0: 7E084504
	v_rcp_f32_e32 v5, v5                                       // 0000000056E4: 7E0A4505
	v_rcp_f32_e32 v6, v6                                       // 0000000056E8: 7E0C4506
	v_rcp_f32_e32 v7, v7                                       // 0000000056EC: 7E0E4507
	v_mul_f32_e32 v96, v96, v4                                 // 0000000056F0: 0AC00960
	v_mul_f32_e32 v97, v97, v5                                 // 0000000056F4: 0AC20B61
	v_mul_f32_e32 v98, v98, v6                                 // 0000000056F8: 0AC40D62
	v_mul_f32_e32 v99, v99, v7                                 // 0000000056FC: 0AC60F63
	v_mul_f32_e32 v96, v96, v160                               // 000000005700: 0AC14160
	v_mul_f32_e32 v97, v97, v161                               // 000000005704: 0AC34361
	v_mul_f32_e32 v98, v98, v162                               // 000000005708: 0AC54562
	v_mul_f32_e32 v99, v99, v163                               // 00000000570C: 0AC74763
	v_mul_f32_e64 v4, -v100, s6                                // 000000005710: D1050004 20000D64
	v_mul_f32_e64 v5, -v101, s6                                // 000000005718: D1050005 20000D65
	v_mul_f32_e64 v6, -v102, s6                                // 000000005720: D1050006 20000D66
	v_mul_f32_e64 v7, -v103, s6                                // 000000005728: D1050007 20000D67
	v_exp_f32_e32 v4, v4                                       // 000000005730: 7E084104
	v_exp_f32_e32 v5, v5                                       // 000000005734: 7E0A4105
	v_exp_f32_e32 v6, v6                                       // 000000005738: 7E0C4106
	v_exp_f32_e32 v7, v7                                       // 00000000573C: 7E0E4107
	v_add_f32_e64 v4, v4, 1.0                                  // 000000005740: D1010004 0001E504
	v_add_f32_e64 v5, v5, 1.0                                  // 000000005748: D1010005 0001E505
	v_add_f32_e64 v6, v6, 1.0                                  // 000000005750: D1010006 0001E506
	v_add_f32_e64 v7, v7, 1.0                                  // 000000005758: D1010007 0001E507
	v_rcp_f32_e32 v4, v4                                       // 000000005760: 7E084504
	v_rcp_f32_e32 v5, v5                                       // 000000005764: 7E0A4505
	v_rcp_f32_e32 v6, v6                                       // 000000005768: 7E0C4506
	v_rcp_f32_e32 v7, v7                                       // 00000000576C: 7E0E4507
	v_mul_f32_e32 v100, v100, v4                               // 000000005770: 0AC80964
	v_mul_f32_e32 v101, v101, v5                               // 000000005774: 0ACA0B65
	v_mul_f32_e32 v102, v102, v6                               // 000000005778: 0ACC0D66
	v_mul_f32_e32 v103, v103, v7                               // 00000000577C: 0ACE0F67
	v_mul_f32_e32 v100, v100, v164                             // 000000005780: 0AC94964
	v_mul_f32_e32 v101, v101, v165                             // 000000005784: 0ACB4B65
	v_mul_f32_e32 v102, v102, v166                             // 000000005788: 0ACD4D66
	v_mul_f32_e32 v103, v103, v167                             // 00000000578C: 0ACF4F67
	v_mul_f32_e64 v4, -v104, s6                                // 000000005790: D1050004 20000D68
	v_mul_f32_e64 v5, -v105, s6                                // 000000005798: D1050005 20000D69
	v_mul_f32_e64 v6, -v106, s6                                // 0000000057A0: D1050006 20000D6A
	v_mul_f32_e64 v7, -v107, s6                                // 0000000057A8: D1050007 20000D6B
	v_exp_f32_e32 v4, v4                                       // 0000000057B0: 7E084104
	v_exp_f32_e32 v5, v5                                       // 0000000057B4: 7E0A4105
	v_exp_f32_e32 v6, v6                                       // 0000000057B8: 7E0C4106
	v_exp_f32_e32 v7, v7                                       // 0000000057BC: 7E0E4107
	v_add_f32_e64 v4, v4, 1.0                                  // 0000000057C0: D1010004 0001E504
	v_add_f32_e64 v5, v5, 1.0                                  // 0000000057C8: D1010005 0001E505
	v_add_f32_e64 v6, v6, 1.0                                  // 0000000057D0: D1010006 0001E506
	v_add_f32_e64 v7, v7, 1.0                                  // 0000000057D8: D1010007 0001E507
	v_rcp_f32_e32 v4, v4                                       // 0000000057E0: 7E084504
	v_rcp_f32_e32 v5, v5                                       // 0000000057E4: 7E0A4505
	v_rcp_f32_e32 v6, v6                                       // 0000000057E8: 7E0C4506
	v_rcp_f32_e32 v7, v7                                       // 0000000057EC: 7E0E4507
	v_mul_f32_e32 v104, v104, v4                               // 0000000057F0: 0AD00968
	v_mul_f32_e32 v105, v105, v5                               // 0000000057F4: 0AD20B69
	v_mul_f32_e32 v106, v106, v6                               // 0000000057F8: 0AD40D6A
	v_mul_f32_e32 v107, v107, v7                               // 0000000057FC: 0AD60F6B
	v_mul_f32_e32 v104, v104, v168                             // 000000005800: 0AD15168
	v_mul_f32_e32 v105, v105, v169                             // 000000005804: 0AD35369
	v_mul_f32_e32 v106, v106, v170                             // 000000005808: 0AD5556A
	v_mul_f32_e32 v107, v107, v171                             // 00000000580C: 0AD7576B
	v_mul_f32_e64 v4, -v108, s6                                // 000000005810: D1050004 20000D6C
	v_mul_f32_e64 v5, -v109, s6                                // 000000005818: D1050005 20000D6D
	v_mul_f32_e64 v6, -v110, s6                                // 000000005820: D1050006 20000D6E
	v_mul_f32_e64 v7, -v111, s6                                // 000000005828: D1050007 20000D6F
	v_exp_f32_e32 v4, v4                                       // 000000005830: 7E084104
	v_exp_f32_e32 v5, v5                                       // 000000005834: 7E0A4105
	v_exp_f32_e32 v6, v6                                       // 000000005838: 7E0C4106
	v_exp_f32_e32 v7, v7                                       // 00000000583C: 7E0E4107
	v_add_f32_e64 v4, v4, 1.0                                  // 000000005840: D1010004 0001E504
	v_add_f32_e64 v5, v5, 1.0                                  // 000000005848: D1010005 0001E505
	v_add_f32_e64 v6, v6, 1.0                                  // 000000005850: D1010006 0001E506
	v_add_f32_e64 v7, v7, 1.0                                  // 000000005858: D1010007 0001E507
	v_rcp_f32_e32 v4, v4                                       // 000000005860: 7E084504
	v_rcp_f32_e32 v5, v5                                       // 000000005864: 7E0A4505
	v_rcp_f32_e32 v6, v6                                       // 000000005868: 7E0C4506
	v_rcp_f32_e32 v7, v7                                       // 00000000586C: 7E0E4507
	v_mul_f32_e32 v108, v108, v4                               // 000000005870: 0AD8096C
	v_mul_f32_e32 v109, v109, v5                               // 000000005874: 0ADA0B6D
	v_mul_f32_e32 v110, v110, v6                               // 000000005878: 0ADC0D6E
	v_mul_f32_e32 v111, v111, v7                               // 00000000587C: 0ADE0F6F
	v_mul_f32_e32 v108, v108, v172                             // 000000005880: 0AD9596C
	v_mul_f32_e32 v109, v109, v173                             // 000000005884: 0ADB5B6D
	v_mul_f32_e32 v110, v110, v174                             // 000000005888: 0ADD5D6E
	v_mul_f32_e32 v111, v111, v175                             // 00000000588C: 0ADF5F6F
	v_mul_f32_e64 v4, -v112, s6                                // 000000005890: D1050004 20000D70
	v_mul_f32_e64 v5, -v113, s6                                // 000000005898: D1050005 20000D71
	v_mul_f32_e64 v6, -v114, s6                                // 0000000058A0: D1050006 20000D72
	v_mul_f32_e64 v7, -v115, s6                                // 0000000058A8: D1050007 20000D73
	v_exp_f32_e32 v4, v4                                       // 0000000058B0: 7E084104
	v_exp_f32_e32 v5, v5                                       // 0000000058B4: 7E0A4105
	v_exp_f32_e32 v6, v6                                       // 0000000058B8: 7E0C4106
	v_exp_f32_e32 v7, v7                                       // 0000000058BC: 7E0E4107
	v_add_f32_e64 v4, v4, 1.0                                  // 0000000058C0: D1010004 0001E504
	v_add_f32_e64 v5, v5, 1.0                                  // 0000000058C8: D1010005 0001E505
	v_add_f32_e64 v6, v6, 1.0                                  // 0000000058D0: D1010006 0001E506
	v_add_f32_e64 v7, v7, 1.0                                  // 0000000058D8: D1010007 0001E507
	v_rcp_f32_e32 v4, v4                                       // 0000000058E0: 7E084504
	v_rcp_f32_e32 v5, v5                                       // 0000000058E4: 7E0A4505
	v_rcp_f32_e32 v6, v6                                       // 0000000058E8: 7E0C4506
	v_rcp_f32_e32 v7, v7                                       // 0000000058EC: 7E0E4507
	v_mul_f32_e32 v112, v112, v4                               // 0000000058F0: 0AE00970
	v_mul_f32_e32 v113, v113, v5                               // 0000000058F4: 0AE20B71
	v_mul_f32_e32 v114, v114, v6                               // 0000000058F8: 0AE40D72
	v_mul_f32_e32 v115, v115, v7                               // 0000000058FC: 0AE60F73
	v_mul_f32_e32 v112, v112, v176                             // 000000005900: 0AE16170
	v_mul_f32_e32 v113, v113, v177                             // 000000005904: 0AE36371
	v_mul_f32_e32 v114, v114, v178                             // 000000005908: 0AE56572
	v_mul_f32_e32 v115, v115, v179                             // 00000000590C: 0AE76773

0000000000005910 <label_0BC4>:
	v_cmp_u_f32_e64 s[46:47], v52, v52                         // 000000005910: D048002E 00026934
	v_add3_u32 v16, v52, v19, 1                                // 000000005918: D1FF0010 02062734
	v_cndmask_b32_e64 v4, v16, v18, s[46:47]                   // 000000005920: D1000004 00BA2510
	v_cmp_u_f32_e64 s[46:47], v53, v53                         // 000000005928: D048002E 00026B35
	v_add3_u32 v16, v53, v19, 1                                // 000000005930: D1FF0010 02062735
	v_cndmask_b32_e64 v5, v16, v18, s[46:47]                   // 000000005938: D1000005 00BA2510
	v_perm_b32 v52, v5, v4, s52                                // 000000005940: D1ED0034 00D20905
	v_cmp_u_f32_e64 s[46:47], v54, v54                         // 000000005948: D048002E 00026D36
	v_add3_u32 v16, v54, v19, 1                                // 000000005950: D1FF0010 02062736
	v_cndmask_b32_e64 v4, v16, v18, s[46:47]                   // 000000005958: D1000004 00BA2510
	v_cmp_u_f32_e64 s[46:47], v55, v55                         // 000000005960: D048002E 00026F37
	v_add3_u32 v16, v55, v19, 1                                // 000000005968: D1FF0010 02062737
	v_cndmask_b32_e64 v5, v16, v18, s[46:47]                   // 000000005970: D1000005 00BA2510
	v_perm_b32 v53, v5, v4, s52                                // 000000005978: D1ED0035 00D20905
	v_cmp_u_f32_e64 s[46:47], v56, v56                         // 000000005980: D048002E 00027138
	v_add3_u32 v16, v56, v19, 1                                // 000000005988: D1FF0010 02062738
	v_cndmask_b32_e64 v4, v16, v18, s[46:47]                   // 000000005990: D1000004 00BA2510
	v_cmp_u_f32_e64 s[46:47], v57, v57                         // 000000005998: D048002E 00027339
	v_add3_u32 v16, v57, v19, 1                                // 0000000059A0: D1FF0010 02062739
	v_cndmask_b32_e64 v5, v16, v18, s[46:47]                   // 0000000059A8: D1000005 00BA2510
	v_perm_b32 v54, v5, v4, s52                                // 0000000059B0: D1ED0036 00D20905
	v_cmp_u_f32_e64 s[46:47], v58, v58                         // 0000000059B8: D048002E 0002753A
	v_add3_u32 v16, v58, v19, 1                                // 0000000059C0: D1FF0010 0206273A
	v_cndmask_b32_e64 v4, v16, v18, s[46:47]                   // 0000000059C8: D1000004 00BA2510
	v_cmp_u_f32_e64 s[46:47], v59, v59                         // 0000000059D0: D048002E 0002773B
	v_add3_u32 v16, v59, v19, 1                                // 0000000059D8: D1FF0010 0206273B
	v_cndmask_b32_e64 v5, v16, v18, s[46:47]                   // 0000000059E0: D1000005 00BA2510
	v_perm_b32 v55, v5, v4, s52                                // 0000000059E8: D1ED0037 00D20905
	v_cmp_u_f32_e64 s[46:47], v60, v60                         // 0000000059F0: D048002E 0002793C
	v_add3_u32 v16, v60, v19, 1                                // 0000000059F8: D1FF0010 0206273C
	v_cndmask_b32_e64 v4, v16, v18, s[46:47]                   // 000000005A00: D1000004 00BA2510
	v_cmp_u_f32_e64 s[46:47], v61, v61                         // 000000005A08: D048002E 00027B3D
	v_add3_u32 v16, v61, v19, 1                                // 000000005A10: D1FF0010 0206273D
	v_cndmask_b32_e64 v5, v16, v18, s[46:47]                   // 000000005A18: D1000005 00BA2510
	v_perm_b32 v56, v5, v4, s52                                // 000000005A20: D1ED0038 00D20905
	v_cmp_u_f32_e64 s[46:47], v62, v62                         // 000000005A28: D048002E 00027D3E
	v_add3_u32 v16, v62, v19, 1                                // 000000005A30: D1FF0010 0206273E
	v_cndmask_b32_e64 v4, v16, v18, s[46:47]                   // 000000005A38: D1000004 00BA2510
	v_cmp_u_f32_e64 s[46:47], v63, v63                         // 000000005A40: D048002E 00027F3F
	v_add3_u32 v16, v63, v19, 1                                // 000000005A48: D1FF0010 0206273F
	v_cndmask_b32_e64 v5, v16, v18, s[46:47]                   // 000000005A50: D1000005 00BA2510
	v_perm_b32 v57, v5, v4, s52                                // 000000005A58: D1ED0039 00D20905
	v_cmp_u_f32_e64 s[46:47], v64, v64                         // 000000005A60: D048002E 00028140
	v_add3_u32 v16, v64, v19, 1                                // 000000005A68: D1FF0010 02062740
	v_cndmask_b32_e64 v4, v16, v18, s[46:47]                   // 000000005A70: D1000004 00BA2510
	v_cmp_u_f32_e64 s[46:47], v65, v65                         // 000000005A78: D048002E 00028341
	v_add3_u32 v16, v65, v19, 1                                // 000000005A80: D1FF0010 02062741
	v_cndmask_b32_e64 v5, v16, v18, s[46:47]                   // 000000005A88: D1000005 00BA2510
	v_perm_b32 v58, v5, v4, s52                                // 000000005A90: D1ED003A 00D20905
	v_cmp_u_f32_e64 s[46:47], v66, v66                         // 000000005A98: D048002E 00028542
	v_add3_u32 v16, v66, v19, 1                                // 000000005AA0: D1FF0010 02062742
	v_cndmask_b32_e64 v4, v16, v18, s[46:47]                   // 000000005AA8: D1000004 00BA2510
	v_cmp_u_f32_e64 s[46:47], v67, v67                         // 000000005AB0: D048002E 00028743
	v_add3_u32 v16, v67, v19, 1                                // 000000005AB8: D1FF0010 02062743
	v_cndmask_b32_e64 v5, v16, v18, s[46:47]                   // 000000005AC0: D1000005 00BA2510
	v_perm_b32 v59, v5, v4, s52                                // 000000005AC8: D1ED003B 00D20905
	v_cmp_u_f32_e64 s[46:47], v68, v68                         // 000000005AD0: D048002E 00028944
	v_add3_u32 v16, v68, v19, 1                                // 000000005AD8: D1FF0010 02062744
	v_cndmask_b32_e64 v4, v16, v18, s[46:47]                   // 000000005AE0: D1000004 00BA2510
	v_cmp_u_f32_e64 s[46:47], v69, v69                         // 000000005AE8: D048002E 00028B45
	v_add3_u32 v16, v69, v19, 1                                // 000000005AF0: D1FF0010 02062745
	v_cndmask_b32_e64 v5, v16, v18, s[46:47]                   // 000000005AF8: D1000005 00BA2510
	v_perm_b32 v60, v5, v4, s52                                // 000000005B00: D1ED003C 00D20905
	v_cmp_u_f32_e64 s[46:47], v70, v70                         // 000000005B08: D048002E 00028D46
	v_add3_u32 v16, v70, v19, 1                                // 000000005B10: D1FF0010 02062746
	v_cndmask_b32_e64 v4, v16, v18, s[46:47]                   // 000000005B18: D1000004 00BA2510
	v_cmp_u_f32_e64 s[46:47], v71, v71                         // 000000005B20: D048002E 00028F47
	v_add3_u32 v16, v71, v19, 1                                // 000000005B28: D1FF0010 02062747
	v_cndmask_b32_e64 v5, v16, v18, s[46:47]                   // 000000005B30: D1000005 00BA2510
	v_perm_b32 v61, v5, v4, s52                                // 000000005B38: D1ED003D 00D20905
	v_cmp_u_f32_e64 s[46:47], v72, v72                         // 000000005B40: D048002E 00029148
	v_add3_u32 v16, v72, v19, 1                                // 000000005B48: D1FF0010 02062748
	v_cndmask_b32_e64 v4, v16, v18, s[46:47]                   // 000000005B50: D1000004 00BA2510
	v_cmp_u_f32_e64 s[46:47], v73, v73                         // 000000005B58: D048002E 00029349
	v_add3_u32 v16, v73, v19, 1                                // 000000005B60: D1FF0010 02062749
	v_cndmask_b32_e64 v5, v16, v18, s[46:47]                   // 000000005B68: D1000005 00BA2510
	v_perm_b32 v62, v5, v4, s52                                // 000000005B70: D1ED003E 00D20905
	v_cmp_u_f32_e64 s[46:47], v74, v74                         // 000000005B78: D048002E 0002954A
	v_add3_u32 v16, v74, v19, 1                                // 000000005B80: D1FF0010 0206274A
	v_cndmask_b32_e64 v4, v16, v18, s[46:47]                   // 000000005B88: D1000004 00BA2510
	v_cmp_u_f32_e64 s[46:47], v75, v75                         // 000000005B90: D048002E 0002974B
	v_add3_u32 v16, v75, v19, 1                                // 000000005B98: D1FF0010 0206274B
	v_cndmask_b32_e64 v5, v16, v18, s[46:47]                   // 000000005BA0: D1000005 00BA2510
	v_perm_b32 v63, v5, v4, s52                                // 000000005BA8: D1ED003F 00D20905
	v_cmp_u_f32_e64 s[46:47], v76, v76                         // 000000005BB0: D048002E 0002994C
	v_add3_u32 v16, v76, v19, 1                                // 000000005BB8: D1FF0010 0206274C
	v_cndmask_b32_e64 v4, v16, v18, s[46:47]                   // 000000005BC0: D1000004 00BA2510
	v_cmp_u_f32_e64 s[46:47], v77, v77                         // 000000005BC8: D048002E 00029B4D
	v_add3_u32 v16, v77, v19, 1                                // 000000005BD0: D1FF0010 0206274D
	v_cndmask_b32_e64 v5, v16, v18, s[46:47]                   // 000000005BD8: D1000005 00BA2510
	v_perm_b32 v64, v5, v4, s52                                // 000000005BE0: D1ED0040 00D20905
	v_cmp_u_f32_e64 s[46:47], v78, v78                         // 000000005BE8: D048002E 00029D4E
	v_add3_u32 v16, v78, v19, 1                                // 000000005BF0: D1FF0010 0206274E
	v_cndmask_b32_e64 v4, v16, v18, s[46:47]                   // 000000005BF8: D1000004 00BA2510
	v_cmp_u_f32_e64 s[46:47], v79, v79                         // 000000005C00: D048002E 00029F4F
	v_add3_u32 v16, v79, v19, 1                                // 000000005C08: D1FF0010 0206274F
	v_cndmask_b32_e64 v5, v16, v18, s[46:47]                   // 000000005C10: D1000005 00BA2510
	v_perm_b32 v65, v5, v4, s52                                // 000000005C18: D1ED0041 00D20905
	v_cmp_u_f32_e64 s[46:47], v80, v80                         // 000000005C20: D048002E 0002A150
	v_add3_u32 v16, v80, v19, 1                                // 000000005C28: D1FF0010 02062750
	v_cndmask_b32_e64 v4, v16, v18, s[46:47]                   // 000000005C30: D1000004 00BA2510
	v_cmp_u_f32_e64 s[46:47], v81, v81                         // 000000005C38: D048002E 0002A351
	v_add3_u32 v16, v81, v19, 1                                // 000000005C40: D1FF0010 02062751
	v_cndmask_b32_e64 v5, v16, v18, s[46:47]                   // 000000005C48: D1000005 00BA2510
	v_perm_b32 v66, v5, v4, s52                                // 000000005C50: D1ED0042 00D20905
	v_cmp_u_f32_e64 s[46:47], v82, v82                         // 000000005C58: D048002E 0002A552
	v_add3_u32 v16, v82, v19, 1                                // 000000005C60: D1FF0010 02062752
	v_cndmask_b32_e64 v4, v16, v18, s[46:47]                   // 000000005C68: D1000004 00BA2510
	v_cmp_u_f32_e64 s[46:47], v83, v83                         // 000000005C70: D048002E 0002A753
	v_add3_u32 v16, v83, v19, 1                                // 000000005C78: D1FF0010 02062753
	v_cndmask_b32_e64 v5, v16, v18, s[46:47]                   // 000000005C80: D1000005 00BA2510
	v_perm_b32 v67, v5, v4, s52                                // 000000005C88: D1ED0043 00D20905
	v_cmp_u_f32_e64 s[46:47], v84, v84                         // 000000005C90: D048002E 0002A954
	v_add3_u32 v16, v84, v19, 1                                // 000000005C98: D1FF0010 02062754
	v_cndmask_b32_e64 v4, v16, v18, s[46:47]                   // 000000005CA0: D1000004 00BA2510
	v_cmp_u_f32_e64 s[46:47], v85, v85                         // 000000005CA8: D048002E 0002AB55
	v_add3_u32 v16, v85, v19, 1                                // 000000005CB0: D1FF0010 02062755
	v_cndmask_b32_e64 v5, v16, v18, s[46:47]                   // 000000005CB8: D1000005 00BA2510
	v_perm_b32 v68, v5, v4, s52                                // 000000005CC0: D1ED0044 00D20905
	v_cmp_u_f32_e64 s[46:47], v86, v86                         // 000000005CC8: D048002E 0002AD56
	v_add3_u32 v16, v86, v19, 1                                // 000000005CD0: D1FF0010 02062756
	v_cndmask_b32_e64 v4, v16, v18, s[46:47]                   // 000000005CD8: D1000004 00BA2510
	v_cmp_u_f32_e64 s[46:47], v87, v87                         // 000000005CE0: D048002E 0002AF57
	v_add3_u32 v16, v87, v19, 1                                // 000000005CE8: D1FF0010 02062757
	v_cndmask_b32_e64 v5, v16, v18, s[46:47]                   // 000000005CF0: D1000005 00BA2510
	v_perm_b32 v69, v5, v4, s52                                // 000000005CF8: D1ED0045 00D20905
	v_cmp_u_f32_e64 s[46:47], v88, v88                         // 000000005D00: D048002E 0002B158
	v_add3_u32 v16, v88, v19, 1                                // 000000005D08: D1FF0010 02062758
	v_cndmask_b32_e64 v4, v16, v18, s[46:47]                   // 000000005D10: D1000004 00BA2510
	v_cmp_u_f32_e64 s[46:47], v89, v89                         // 000000005D18: D048002E 0002B359
	v_add3_u32 v16, v89, v19, 1                                // 000000005D20: D1FF0010 02062759
	v_cndmask_b32_e64 v5, v16, v18, s[46:47]                   // 000000005D28: D1000005 00BA2510
	v_perm_b32 v70, v5, v4, s52                                // 000000005D30: D1ED0046 00D20905
	v_cmp_u_f32_e64 s[46:47], v90, v90                         // 000000005D38: D048002E 0002B55A
	v_add3_u32 v16, v90, v19, 1                                // 000000005D40: D1FF0010 0206275A
	v_cndmask_b32_e64 v4, v16, v18, s[46:47]                   // 000000005D48: D1000004 00BA2510
	v_cmp_u_f32_e64 s[46:47], v91, v91                         // 000000005D50: D048002E 0002B75B
	v_add3_u32 v16, v91, v19, 1                                // 000000005D58: D1FF0010 0206275B
	v_cndmask_b32_e64 v5, v16, v18, s[46:47]                   // 000000005D60: D1000005 00BA2510
	v_perm_b32 v71, v5, v4, s52                                // 000000005D68: D1ED0047 00D20905
	v_cmp_u_f32_e64 s[46:47], v92, v92                         // 000000005D70: D048002E 0002B95C
	v_add3_u32 v16, v92, v19, 1                                // 000000005D78: D1FF0010 0206275C
	v_cndmask_b32_e64 v4, v16, v18, s[46:47]                   // 000000005D80: D1000004 00BA2510
	v_cmp_u_f32_e64 s[46:47], v93, v93                         // 000000005D88: D048002E 0002BB5D
	v_add3_u32 v16, v93, v19, 1                                // 000000005D90: D1FF0010 0206275D
	v_cndmask_b32_e64 v5, v16, v18, s[46:47]                   // 000000005D98: D1000005 00BA2510
	v_perm_b32 v72, v5, v4, s52                                // 000000005DA0: D1ED0048 00D20905
	v_cmp_u_f32_e64 s[46:47], v94, v94                         // 000000005DA8: D048002E 0002BD5E
	v_add3_u32 v16, v94, v19, 1                                // 000000005DB0: D1FF0010 0206275E
	v_cndmask_b32_e64 v4, v16, v18, s[46:47]                   // 000000005DB8: D1000004 00BA2510
	v_cmp_u_f32_e64 s[46:47], v95, v95                         // 000000005DC0: D048002E 0002BF5F
	v_add3_u32 v16, v95, v19, 1                                // 000000005DC8: D1FF0010 0206275F
	v_cndmask_b32_e64 v5, v16, v18, s[46:47]                   // 000000005DD0: D1000005 00BA2510
	v_perm_b32 v73, v5, v4, s52                                // 000000005DD8: D1ED0049 00D20905
	v_cmp_u_f32_e64 s[46:47], v96, v96                         // 000000005DE0: D048002E 0002C160
	v_add3_u32 v16, v96, v19, 1                                // 000000005DE8: D1FF0010 02062760
	v_cndmask_b32_e64 v4, v16, v18, s[46:47]                   // 000000005DF0: D1000004 00BA2510
	v_cmp_u_f32_e64 s[46:47], v97, v97                         // 000000005DF8: D048002E 0002C361
	v_add3_u32 v16, v97, v19, 1                                // 000000005E00: D1FF0010 02062761
	v_cndmask_b32_e64 v5, v16, v18, s[46:47]                   // 000000005E08: D1000005 00BA2510
	v_perm_b32 v74, v5, v4, s52                                // 000000005E10: D1ED004A 00D20905
	v_cmp_u_f32_e64 s[46:47], v98, v98                         // 000000005E18: D048002E 0002C562
	v_add3_u32 v16, v98, v19, 1                                // 000000005E20: D1FF0010 02062762
	v_cndmask_b32_e64 v4, v16, v18, s[46:47]                   // 000000005E28: D1000004 00BA2510
	v_cmp_u_f32_e64 s[46:47], v99, v99                         // 000000005E30: D048002E 0002C763
	v_add3_u32 v16, v99, v19, 1                                // 000000005E38: D1FF0010 02062763
	v_cndmask_b32_e64 v5, v16, v18, s[46:47]                   // 000000005E40: D1000005 00BA2510
	v_perm_b32 v75, v5, v4, s52                                // 000000005E48: D1ED004B 00D20905
	v_cmp_u_f32_e64 s[46:47], v100, v100                       // 000000005E50: D048002E 0002C964
	v_add3_u32 v16, v100, v19, 1                               // 000000005E58: D1FF0010 02062764
	v_cndmask_b32_e64 v4, v16, v18, s[46:47]                   // 000000005E60: D1000004 00BA2510
	v_cmp_u_f32_e64 s[46:47], v101, v101                       // 000000005E68: D048002E 0002CB65
	v_add3_u32 v16, v101, v19, 1                               // 000000005E70: D1FF0010 02062765
	v_cndmask_b32_e64 v5, v16, v18, s[46:47]                   // 000000005E78: D1000005 00BA2510
	v_perm_b32 v76, v5, v4, s52                                // 000000005E80: D1ED004C 00D20905
	v_cmp_u_f32_e64 s[46:47], v102, v102                       // 000000005E88: D048002E 0002CD66
	v_add3_u32 v16, v102, v19, 1                               // 000000005E90: D1FF0010 02062766
	v_cndmask_b32_e64 v4, v16, v18, s[46:47]                   // 000000005E98: D1000004 00BA2510
	v_cmp_u_f32_e64 s[46:47], v103, v103                       // 000000005EA0: D048002E 0002CF67
	v_add3_u32 v16, v103, v19, 1                               // 000000005EA8: D1FF0010 02062767
	v_cndmask_b32_e64 v5, v16, v18, s[46:47]                   // 000000005EB0: D1000005 00BA2510
	v_perm_b32 v77, v5, v4, s52                                // 000000005EB8: D1ED004D 00D20905
	v_cmp_u_f32_e64 s[46:47], v104, v104                       // 000000005EC0: D048002E 0002D168
	v_add3_u32 v16, v104, v19, 1                               // 000000005EC8: D1FF0010 02062768
	v_cndmask_b32_e64 v4, v16, v18, s[46:47]                   // 000000005ED0: D1000004 00BA2510
	v_cmp_u_f32_e64 s[46:47], v105, v105                       // 000000005ED8: D048002E 0002D369
	v_add3_u32 v16, v105, v19, 1                               // 000000005EE0: D1FF0010 02062769
	v_cndmask_b32_e64 v5, v16, v18, s[46:47]                   // 000000005EE8: D1000005 00BA2510
	v_perm_b32 v78, v5, v4, s52                                // 000000005EF0: D1ED004E 00D20905
	v_cmp_u_f32_e64 s[46:47], v106, v106                       // 000000005EF8: D048002E 0002D56A
	v_add3_u32 v16, v106, v19, 1                               // 000000005F00: D1FF0010 0206276A
	v_cndmask_b32_e64 v4, v16, v18, s[46:47]                   // 000000005F08: D1000004 00BA2510
	v_cmp_u_f32_e64 s[46:47], v107, v107                       // 000000005F10: D048002E 0002D76B
	v_add3_u32 v16, v107, v19, 1                               // 000000005F18: D1FF0010 0206276B
	v_cndmask_b32_e64 v5, v16, v18, s[46:47]                   // 000000005F20: D1000005 00BA2510
	v_perm_b32 v79, v5, v4, s52                                // 000000005F28: D1ED004F 00D20905
	v_cmp_u_f32_e64 s[46:47], v108, v108                       // 000000005F30: D048002E 0002D96C
	v_add3_u32 v16, v108, v19, 1                               // 000000005F38: D1FF0010 0206276C
	v_cndmask_b32_e64 v4, v16, v18, s[46:47]                   // 000000005F40: D1000004 00BA2510
	v_cmp_u_f32_e64 s[46:47], v109, v109                       // 000000005F48: D048002E 0002DB6D
	v_add3_u32 v16, v109, v19, 1                               // 000000005F50: D1FF0010 0206276D
	v_cndmask_b32_e64 v5, v16, v18, s[46:47]                   // 000000005F58: D1000005 00BA2510
	v_perm_b32 v80, v5, v4, s52                                // 000000005F60: D1ED0050 00D20905
	v_cmp_u_f32_e64 s[46:47], v110, v110                       // 000000005F68: D048002E 0002DD6E
	v_add3_u32 v16, v110, v19, 1                               // 000000005F70: D1FF0010 0206276E
	v_cndmask_b32_e64 v4, v16, v18, s[46:47]                   // 000000005F78: D1000004 00BA2510
	v_cmp_u_f32_e64 s[46:47], v111, v111                       // 000000005F80: D048002E 0002DF6F
	v_add3_u32 v16, v111, v19, 1                               // 000000005F88: D1FF0010 0206276F
	v_cndmask_b32_e64 v5, v16, v18, s[46:47]                   // 000000005F90: D1000005 00BA2510
	v_perm_b32 v81, v5, v4, s52                                // 000000005F98: D1ED0051 00D20905
	v_cmp_u_f32_e64 s[46:47], v112, v112                       // 000000005FA0: D048002E 0002E170
	v_add3_u32 v16, v112, v19, 1                               // 000000005FA8: D1FF0010 02062770
	v_cndmask_b32_e64 v4, v16, v18, s[46:47]                   // 000000005FB0: D1000004 00BA2510
	v_cmp_u_f32_e64 s[46:47], v113, v113                       // 000000005FB8: D048002E 0002E371
	v_add3_u32 v16, v113, v19, 1                               // 000000005FC0: D1FF0010 02062771
	v_cndmask_b32_e64 v5, v16, v18, s[46:47]                   // 000000005FC8: D1000005 00BA2510
	v_perm_b32 v82, v5, v4, s52                                // 000000005FD0: D1ED0052 00D20905
	v_cmp_u_f32_e64 s[46:47], v114, v114                       // 000000005FD8: D048002E 0002E572
	v_add3_u32 v16, v114, v19, 1                               // 000000005FE0: D1FF0010 02062772
	v_cndmask_b32_e64 v4, v16, v18, s[46:47]                   // 000000005FE8: D1000004 00BA2510
	v_cmp_u_f32_e64 s[46:47], v115, v115                       // 000000005FF0: D048002E 0002E773
	v_add3_u32 v16, v115, v19, 1                               // 000000005FF8: D1FF0010 02062773
	v_cndmask_b32_e64 v5, v16, v18, s[46:47]                   // 000000006000: D1000005 00BA2510
	v_perm_b32 v83, v5, v4, s52                                // 000000006008: D1ED0053 00D20905
	ds_write_b64 v20, v[52:53]                                 // 000000006010: D89A0000 00003414
	ds_write_b64 v20, v[54:55] offset:17408                    // 000000006018: D89A4400 00003614
	ds_write_b64 v20, v[56:57] offset:2176                     // 000000006020: D89A0880 00003814
	ds_write_b64 v20, v[58:59] offset:19584                    // 000000006028: D89A4C80 00003A14
	ds_write_b64 v20, v[60:61] offset:4352                     // 000000006030: D89A1100 00003C14
	ds_write_b64 v20, v[62:63] offset:21760                    // 000000006038: D89A5500 00003E14
	ds_write_b64 v20, v[64:65] offset:6528                     // 000000006040: D89A1980 00004014
	ds_write_b64 v20, v[66:67] offset:23936                    // 000000006048: D89A5D80 00004214
	ds_write_b64 v20, v[68:69] offset:8704                     // 000000006050: D89A2200 00004414
	ds_write_b64 v20, v[70:71] offset:26112                    // 000000006058: D89A6600 00004614
	ds_write_b64 v20, v[72:73] offset:10880                    // 000000006060: D89A2A80 00004814
	ds_write_b64 v20, v[74:75] offset:28288                    // 000000006068: D89A6E80 00004A14
	ds_write_b64 v20, v[76:77] offset:13056                    // 000000006070: D89A3300 00004C14
	ds_write_b64 v20, v[78:79] offset:30464                    // 000000006078: D89A7700 00004E14
	ds_write_b64 v20, v[80:81] offset:15232                    // 000000006080: D89A3B80 00005014
	ds_write_b64 v20, v[82:83] offset:32640                    // 000000006088: D89A7F80 00005214
	v_lshrrev_b32_e32 v4, 5, v0                                // 000000006090: 20080085
	v_xor_b32_e32 v5, 1, v4                                    // 000000006094: 2A0A0881
	s_mul_i32 s60, s65, 2                                      // 000000006098: 923C8241
	s_cmp_eq_u32 s88, 0                                        // 00000000609C: BF068058
	s_cselect_b32 s61, 1, 4                                    // 0000000060A0: 853D8481
	s_mul_i32 s60, s61, s60                                    // 0000000060A4: 923C3C3D
	v_readlane_b32 s82, v3, 0                                  // 0000000060A8: D2890052 00010103
	s_lshr_b32 s61, s82, 24                                    // 0000000060B0: 8F3D9852
	s_and_b32 s82, s82, 0xffffff                               // 0000000060B4: 8652FF52 00FFFFFF
	s_mul_i32 s82, s82, s71                                    // 0000000060BC: 92524752
	s_mul_i32 s61, s60, s61                                    // 0000000060C0: 923D3D3C
	s_add_u32 s82, s82, s61                                    // 0000000060C4: 80523D52
	v_mul_lo_u32 v6, v5, s82                                   // 0000000060C8: D2850006 0000A505
	v_readlane_b32 s82, v3, 1                                  // 0000000060D0: D2890052 00010303
	s_lshr_b32 s61, s82, 24                                    // 0000000060D8: 8F3D9852
	s_and_b32 s82, s82, 0xffffff                               // 0000000060DC: 8652FF52 00FFFFFF
	s_mul_i32 s82, s82, s71                                    // 0000000060E4: 92524752
	s_mul_i32 s61, s60, s61                                    // 0000000060E8: 923D3D3C
	s_add_u32 s82, s82, s61                                    // 0000000060EC: 80523D52
	v_mul_lo_u32 v7, v4, s82                                   // 0000000060F0: D2850007 0000A504
	v_add_u32_e32 v37, v6, v7                                  // 0000000060F8: 684A0F06
	v_readlane_b32 s82, v3, 2                                  // 0000000060FC: D2890052 00010503
	s_lshr_b32 s61, s82, 24                                    // 000000006104: 8F3D9852
	s_and_b32 s82, s82, 0xffffff                               // 000000006108: 8652FF52 00FFFFFF
	s_mul_i32 s82, s82, s71                                    // 000000006110: 92524752
	s_mul_i32 s61, s60, s61                                    // 000000006114: 923D3D3C
	s_add_u32 s82, s82, s61                                    // 000000006118: 80523D52
	v_mul_lo_u32 v6, v5, s82                                   // 00000000611C: D2850006 0000A505
	v_readlane_b32 s82, v3, 3                                  // 000000006124: D2890052 00010703
	s_lshr_b32 s61, s82, 24                                    // 00000000612C: 8F3D9852
	s_and_b32 s82, s82, 0xffffff                               // 000000006130: 8652FF52 00FFFFFF
	s_mul_i32 s82, s82, s71                                    // 000000006138: 92524752
	s_mul_i32 s61, s60, s61                                    // 00000000613C: 923D3D3C
	s_add_u32 s82, s82, s61                                    // 000000006140: 80523D52
	v_mul_lo_u32 v7, v4, s82                                   // 000000006144: D2850007 0000A504
	v_add_u32_e32 v38, v6, v7                                  // 00000000614C: 684C0F06
	v_readlane_b32 s82, v3, 4                                  // 000000006150: D2890052 00010903
	s_lshr_b32 s61, s82, 24                                    // 000000006158: 8F3D9852
	s_and_b32 s82, s82, 0xffffff                               // 00000000615C: 8652FF52 00FFFFFF
	s_mul_i32 s82, s82, s71                                    // 000000006164: 92524752
	s_mul_i32 s61, s60, s61                                    // 000000006168: 923D3D3C
	s_add_u32 s82, s82, s61                                    // 00000000616C: 80523D52
	v_mul_lo_u32 v6, v5, s82                                   // 000000006170: D2850006 0000A505
	v_readlane_b32 s82, v3, 5                                  // 000000006178: D2890052 00010B03
	s_lshr_b32 s61, s82, 24                                    // 000000006180: 8F3D9852
	s_and_b32 s82, s82, 0xffffff                               // 000000006184: 8652FF52 00FFFFFF
	s_mul_i32 s82, s82, s71                                    // 00000000618C: 92524752
	s_mul_i32 s61, s60, s61                                    // 000000006190: 923D3D3C
	s_add_u32 s82, s82, s61                                    // 000000006194: 80523D52
	v_mul_lo_u32 v7, v4, s82                                   // 000000006198: D2850007 0000A504
	v_add_u32_e32 v39, v6, v7                                  // 0000000061A0: 684E0F06
	v_readlane_b32 s82, v3, 6                                  // 0000000061A4: D2890052 00010D03
	s_lshr_b32 s61, s82, 24                                    // 0000000061AC: 8F3D9852
	s_and_b32 s82, s82, 0xffffff                               // 0000000061B0: 8652FF52 00FFFFFF
	s_mul_i32 s82, s82, s71                                    // 0000000061B8: 92524752
	s_mul_i32 s61, s60, s61                                    // 0000000061BC: 923D3D3C
	s_add_u32 s82, s82, s61                                    // 0000000061C0: 80523D52
	v_mul_lo_u32 v6, v5, s82                                   // 0000000061C4: D2850006 0000A505
	v_readlane_b32 s82, v3, 7                                  // 0000000061CC: D2890052 00010F03
	s_lshr_b32 s61, s82, 24                                    // 0000000061D4: 8F3D9852
	s_and_b32 s82, s82, 0xffffff                               // 0000000061D8: 8652FF52 00FFFFFF
	s_mul_i32 s82, s82, s71                                    // 0000000061E0: 92524752
	s_mul_i32 s61, s60, s61                                    // 0000000061E4: 923D3D3C
	s_add_u32 s82, s82, s61                                    // 0000000061E8: 80523D52
	v_mul_lo_u32 v7, v4, s82                                   // 0000000061EC: D2850007 0000A504
	v_add_u32_e32 v40, v6, v7                                  // 0000000061F4: 68500F06
	v_and_b32_e32 v4, 31, v0                                   // 0000000061F8: 2608009F
	v_lshrrev_b32_e32 v4, 1, v4                                // 0000000061FC: 20080881
	s_cmp_eq_u32 s88, 0                                        // 000000006200: BF068058
	s_cselect_b32 s61, 2, 4                                    // 000000006204: 853D8482
	v_mul_lo_u32 v4, v4, s61                                   // 000000006208: D2850004 00007B04
	v_and_b32_e64 v5, v0, 1                                    // 000000006210: D1130005 00010300
	v_add_u32_e32 v4, v4, v5                                   // 000000006218: 68080B04
	v_lshlrev_b32_e32 v4, 2, v4                                // 00000000621C: 24080882
	v_add_u32_e32 v37, v37, v4                                 // 000000006220: 684A0925
	v_add_u32_e32 v38, v38, v4                                 // 000000006224: 684C0926
	v_add_u32_e32 v39, v39, v4                                 // 000000006228: 684E0927
	v_add_u32_e32 v40, v40, v4                                 // 00000000622C: 68500928
	s_waitcnt lgkmcnt(0)                                       // 000000006230: BF8CC07F
	s_barrier                                                  // 000000006234: BF8A0000
	ds_read_b32 v52, v21                                       // 000000006238: D86C0000 34000015
	ds_read_b32 v53, v21 offset:64                             // 000000006240: D86C0040 35000015
	ds_read_b32 v54, v21 offset:2176                           // 000000006248: D86C0880 36000015
	ds_read_b32 v55, v21 offset:2240                           // 000000006250: D86C08C0 37000015
	ds_read_b32 v56, v21 offset:4352                           // 000000006258: D86C1100 38000015
	ds_read_b32 v57, v21 offset:4416                           // 000000006260: D86C1140 39000015
	ds_read_b32 v58, v21 offset:6528                           // 000000006268: D86C1980 3A000015
	ds_read_b32 v59, v21 offset:6592                           // 000000006270: D86C19C0 3B000015
	ds_read_b32 v60, v21 offset:8704                           // 000000006278: D86C2200 3C000015
	ds_read_b32 v61, v21 offset:8768                           // 000000006280: D86C2240 3D000015
	ds_read_b32 v62, v21 offset:10880                          // 000000006288: D86C2A80 3E000015
	ds_read_b32 v63, v21 offset:10944                          // 000000006290: D86C2AC0 3F000015
	ds_read_b32 v64, v21 offset:13056                          // 000000006298: D86C3300 40000015
	ds_read_b32 v65, v21 offset:13120                          // 0000000062A0: D86C3340 41000015
	ds_read_b32 v66, v21 offset:15232                          // 0000000062A8: D86C3B80 42000015
	ds_read_b32 v67, v21 offset:15296                          // 0000000062B0: D86C3BC0 43000015
	ds_read_b32 v68, v21 offset:17408                          // 0000000062B8: D86C4400 44000015
	ds_read_b32 v69, v21 offset:17472                          // 0000000062C0: D86C4440 45000015
	ds_read_b32 v70, v21 offset:19584                          // 0000000062C8: D86C4C80 46000015
	ds_read_b32 v71, v21 offset:19648                          // 0000000062D0: D86C4CC0 47000015
	ds_read_b32 v72, v21 offset:21760                          // 0000000062D8: D86C5500 48000015
	ds_read_b32 v73, v21 offset:21824                          // 0000000062E0: D86C5540 49000015
	ds_read_b32 v74, v21 offset:23936                          // 0000000062E8: D86C5D80 4A000015
	ds_read_b32 v75, v21 offset:24000                          // 0000000062F0: D86C5DC0 4B000015
	ds_read_b32 v76, v21 offset:26112                          // 0000000062F8: D86C6600 4C000015
	ds_read_b32 v77, v21 offset:26176                          // 000000006300: D86C6640 4D000015
	ds_read_b32 v78, v21 offset:28288                          // 000000006308: D86C6E80 4E000015
	ds_read_b32 v79, v21 offset:28352                          // 000000006310: D86C6EC0 4F000015
	ds_read_b32 v80, v21 offset:30464                          // 000000006318: D86C7700 50000015
	ds_read_b32 v81, v21 offset:30528                          // 000000006320: D86C7740 51000015
	ds_read_b32 v82, v21 offset:32640                          // 000000006328: D86C7F80 52000015
	ds_read_b32 v83, v21 offset:32704                          // 000000006330: D86C7FC0 53000015
	s_waitcnt lgkmcnt(0)                                       // 000000006338: BF8CC07F
	s_mov_b32 s36, -1                                          // 00000000633C: BEA400C1
	s_mov_b32 s37, -1                                          // 000000006340: BEA500C1
	v_mov_b32_e32 v7, 0                                        // 000000006344: 7E0E0280
	s_or_b32 s9, s9, 0x40000                                   // 000000006348: 8709FF09 00040000
	s_mov_b64 exec, s[36:37]                                   // 000000006350: BEFE0124
	v_mov_b32_e32 v6, v37                                      // 000000006354: 7E0C0325
	s_mov_b64 s[60:61], 0                                      // 000000006358: BEBC0180
	v_readlane_b32 s82, v3, 0                                  // 00000000635C: D2890052 00010103
	s_and_b32 s82, s82, 0xffffff                               // 000000006364: 8652FF52 00FFFFFF
	s_cmp_lt_u32 s82, s66                                      // 00000000636C: BF0A4252
	s_cselect_b32 s20, s36, s60                                // 000000006370: 85143C24
	v_readlane_b32 s82, v3, 1                                  // 000000006374: D2890052 00010303
	s_and_b32 s82, s82, 0xffffff                               // 00000000637C: 8652FF52 00FFFFFF
	s_cmp_lt_u32 s82, s66                                      // 000000006384: BF0A4252
	s_cselect_b32 s21, s36, s60                                // 000000006388: 85153C24
	s_mov_b64 exec, s[20:21]                                   // 00000000638C: BEFE0114
	buffer_store_dword v52, v6, s[8:11], 0 offen               // 000000006390: E0701000 80023406
	buffer_store_dword v54, v6, s[8:11], 0 offen offset:128    // 000000006398: E0701080 80023606
	buffer_store_dword v56, v6, s[8:11], 0 offen offset:256    // 0000000063A0: E0701100 80023806
	buffer_store_dword v58, v6, s[8:11], 0 offen offset:384    // 0000000063A8: E0701180 80023A06
	buffer_store_dword v60, v6, s[8:11], 0 offen offset:512    // 0000000063B0: E0701200 80023C06
	buffer_store_dword v62, v6, s[8:11], 0 offen offset:640    // 0000000063B8: E0701280 80023E06
	buffer_store_dword v64, v6, s[8:11], 0 offen offset:768    // 0000000063C0: E0701300 80024006
	buffer_store_dword v66, v6, s[8:11], 0 offen offset:896    // 0000000063C8: E0701380 80024206
	s_mov_b64 exec, s[36:37]                                   // 0000000063D0: BEFE0124
	v_mov_b32_e32 v6, v38                                      // 0000000063D4: 7E0C0326
	s_mov_b64 s[60:61], 0                                      // 0000000063D8: BEBC0180
	v_readlane_b32 s82, v3, 2                                  // 0000000063DC: D2890052 00010503
	s_and_b32 s82, s82, 0xffffff                               // 0000000063E4: 8652FF52 00FFFFFF
	s_cmp_lt_u32 s82, s66                                      // 0000000063EC: BF0A4252
	s_cselect_b32 s20, s36, s60                                // 0000000063F0: 85143C24
	v_readlane_b32 s82, v3, 3                                  // 0000000063F4: D2890052 00010703
	s_and_b32 s82, s82, 0xffffff                               // 0000000063FC: 8652FF52 00FFFFFF
	s_cmp_lt_u32 s82, s66                                      // 000000006404: BF0A4252
	s_cselect_b32 s21, s36, s60                                // 000000006408: 85153C24
	s_mov_b64 exec, s[20:21]                                   // 00000000640C: BEFE0114
	buffer_store_dword v53, v6, s[8:11], 0 offen               // 000000006410: E0701000 80023506
	buffer_store_dword v55, v6, s[8:11], 0 offen offset:128    // 000000006418: E0701080 80023706
	buffer_store_dword v57, v6, s[8:11], 0 offen offset:256    // 000000006420: E0701100 80023906
	buffer_store_dword v59, v6, s[8:11], 0 offen offset:384    // 000000006428: E0701180 80023B06
	buffer_store_dword v61, v6, s[8:11], 0 offen offset:512    // 000000006430: E0701200 80023D06
	buffer_store_dword v63, v6, s[8:11], 0 offen offset:640    // 000000006438: E0701280 80023F06
	buffer_store_dword v65, v6, s[8:11], 0 offen offset:768    // 000000006440: E0701300 80024106
	buffer_store_dword v67, v6, s[8:11], 0 offen offset:896    // 000000006448: E0701380 80024306
	s_mov_b64 exec, s[36:37]                                   // 000000006450: BEFE0124
	v_mov_b32_e32 v6, v39                                      // 000000006454: 7E0C0327
	s_mov_b64 s[60:61], 0                                      // 000000006458: BEBC0180
	v_readlane_b32 s82, v3, 4                                  // 00000000645C: D2890052 00010903
	s_and_b32 s82, s82, 0xffffff                               // 000000006464: 8652FF52 00FFFFFF
	s_cmp_lt_u32 s82, s66                                      // 00000000646C: BF0A4252
	s_cselect_b32 s20, s36, s60                                // 000000006470: 85143C24
	v_readlane_b32 s82, v3, 5                                  // 000000006474: D2890052 00010B03
	s_and_b32 s82, s82, 0xffffff                               // 00000000647C: 8652FF52 00FFFFFF
	s_cmp_lt_u32 s82, s66                                      // 000000006484: BF0A4252
	s_cselect_b32 s21, s36, s60                                // 000000006488: 85153C24
	s_mov_b64 exec, s[20:21]                                   // 00000000648C: BEFE0114
	buffer_store_dword v68, v6, s[8:11], 0 offen               // 000000006490: E0701000 80024406
	buffer_store_dword v70, v6, s[8:11], 0 offen offset:128    // 000000006498: E0701080 80024606
	buffer_store_dword v72, v6, s[8:11], 0 offen offset:256    // 0000000064A0: E0701100 80024806
	buffer_store_dword v74, v6, s[8:11], 0 offen offset:384    // 0000000064A8: E0701180 80024A06
	buffer_store_dword v76, v6, s[8:11], 0 offen offset:512    // 0000000064B0: E0701200 80024C06
	buffer_store_dword v78, v6, s[8:11], 0 offen offset:640    // 0000000064B8: E0701280 80024E06
	buffer_store_dword v80, v6, s[8:11], 0 offen offset:768    // 0000000064C0: E0701300 80025006
	buffer_store_dword v82, v6, s[8:11], 0 offen offset:896    // 0000000064C8: E0701380 80025206
	s_mov_b64 exec, s[36:37]                                   // 0000000064D0: BEFE0124
	v_mov_b32_e32 v6, v40                                      // 0000000064D4: 7E0C0328
	s_mov_b64 s[60:61], 0                                      // 0000000064D8: BEBC0180
	v_readlane_b32 s82, v3, 6                                  // 0000000064DC: D2890052 00010D03
	s_and_b32 s82, s82, 0xffffff                               // 0000000064E4: 8652FF52 00FFFFFF
	s_cmp_lt_u32 s82, s66                                      // 0000000064EC: BF0A4252
	s_cselect_b32 s20, s36, s60                                // 0000000064F0: 85143C24
	v_readlane_b32 s82, v3, 7                                  // 0000000064F4: D2890052 00010F03
	s_and_b32 s82, s82, 0xffffff                               // 0000000064FC: 8652FF52 00FFFFFF
	s_cmp_lt_u32 s82, s66                                      // 000000006504: BF0A4252
	s_cselect_b32 s21, s36, s60                                // 000000006508: 85153C24
	s_mov_b64 exec, s[20:21]                                   // 00000000650C: BEFE0114
	buffer_store_dword v69, v6, s[8:11], 0 offen               // 000000006510: E0701000 80024506
	buffer_store_dword v71, v6, s[8:11], 0 offen offset:128    // 000000006518: E0701080 80024706
	buffer_store_dword v73, v6, s[8:11], 0 offen offset:256    // 000000006520: E0701100 80024906
	buffer_store_dword v75, v6, s[8:11], 0 offen offset:384    // 000000006528: E0701180 80024B06
	buffer_store_dword v77, v6, s[8:11], 0 offen offset:512    // 000000006530: E0701200 80024D06
	buffer_store_dword v79, v6, s[8:11], 0 offen offset:640    // 000000006538: E0701280 80024F06
	buffer_store_dword v81, v6, s[8:11], 0 offen offset:768    // 000000006540: E0701300 80025106
	buffer_store_dword v83, v6, s[8:11], 0 offen offset:896    // 000000006548: E0701380 80025306
	s_mov_b64 exec, s[36:37]                                   // 000000006550: BEFE0124
	s_branch label_2369                                        // 000000006554: BF821490

0000000000006558 <label_0ED6>:
	ds_write_b64 v20, v[52:53]                                 // 000000006558: D89A0000 00003414
	ds_write_b64 v20, v[56:57] offset:17408                    // 000000006560: D89A4400 00003814
	ds_write_b64 v20, v[60:61] offset:2176                     // 000000006568: D89A0880 00003C14
	ds_write_b64 v20, v[64:65] offset:19584                    // 000000006570: D89A4C80 00004014
	ds_write_b64 v20, v[68:69] offset:4352                     // 000000006578: D89A1100 00004414
	ds_write_b64 v20, v[72:73] offset:21760                    // 000000006580: D89A5500 00004814
	ds_write_b64 v20, v[76:77] offset:6528                     // 000000006588: D89A1980 00004C14
	ds_write_b64 v20, v[80:81] offset:23936                    // 000000006590: D89A5D80 00005014
	ds_write_b64 v20, v[84:85] offset:8704                     // 000000006598: D89A2200 00005414
	ds_write_b64 v20, v[88:89] offset:26112                    // 0000000065A0: D89A6600 00005814
	ds_write_b64 v20, v[92:93] offset:10880                    // 0000000065A8: D89A2A80 00005C14
	ds_write_b64 v20, v[96:97] offset:28288                    // 0000000065B0: D89A6E80 00006014
	ds_write_b64 v20, v[100:101] offset:13056                  // 0000000065B8: D89A3300 00006414
	ds_write_b64 v20, v[104:105] offset:30464                  // 0000000065C0: D89A7700 00006814
	ds_write_b64 v20, v[108:109] offset:15232                  // 0000000065C8: D89A3B80 00006C14
	ds_write_b64 v20, v[112:113] offset:32640                  // 0000000065D0: D89A7F80 00007014
	v_lshrrev_b32_e32 v4, 5, v0                                // 0000000065D8: 20080085
	v_xor_b32_e32 v5, 1, v4                                    // 0000000065DC: 2A0A0881
	s_mul_i32 s60, s65, 2                                      // 0000000065E0: 923C8241
	s_cmp_eq_u32 s88, 0                                        // 0000000065E4: BF068058
	s_cselect_b32 s61, 1, 4                                    // 0000000065E8: 853D8481
	s_mul_i32 s60, s61, s60                                    // 0000000065EC: 923C3C3D
	v_readlane_b32 s82, v3, 0                                  // 0000000065F0: D2890052 00010103
	s_lshr_b32 s61, s82, 24                                    // 0000000065F8: 8F3D9852
	s_and_b32 s82, s82, 0xffffff                               // 0000000065FC: 8652FF52 00FFFFFF
	s_mul_i32 s82, s82, s71                                    // 000000006604: 92524752
	s_mul_i32 s61, s60, s61                                    // 000000006608: 923D3D3C
	s_add_u32 s82, s82, s61                                    // 00000000660C: 80523D52
	v_mul_lo_u32 v6, v5, s82                                   // 000000006610: D2850006 0000A505
	v_readlane_b32 s82, v3, 1                                  // 000000006618: D2890052 00010303
	s_lshr_b32 s61, s82, 24                                    // 000000006620: 8F3D9852
	s_and_b32 s82, s82, 0xffffff                               // 000000006624: 8652FF52 00FFFFFF
	s_mul_i32 s82, s82, s71                                    // 00000000662C: 92524752
	s_mul_i32 s61, s60, s61                                    // 000000006630: 923D3D3C
	s_add_u32 s82, s82, s61                                    // 000000006634: 80523D52
	v_mul_lo_u32 v7, v4, s82                                   // 000000006638: D2850007 0000A504
	v_add_u32_e32 v37, v6, v7                                  // 000000006640: 684A0F06
	v_readlane_b32 s82, v3, 2                                  // 000000006644: D2890052 00010503
	s_lshr_b32 s61, s82, 24                                    // 00000000664C: 8F3D9852
	s_and_b32 s82, s82, 0xffffff                               // 000000006650: 8652FF52 00FFFFFF
	s_mul_i32 s82, s82, s71                                    // 000000006658: 92524752
	s_mul_i32 s61, s60, s61                                    // 00000000665C: 923D3D3C
	s_add_u32 s82, s82, s61                                    // 000000006660: 80523D52
	v_mul_lo_u32 v6, v5, s82                                   // 000000006664: D2850006 0000A505
	v_readlane_b32 s82, v3, 3                                  // 00000000666C: D2890052 00010703
	s_lshr_b32 s61, s82, 24                                    // 000000006674: 8F3D9852
	s_and_b32 s82, s82, 0xffffff                               // 000000006678: 8652FF52 00FFFFFF
	s_mul_i32 s82, s82, s71                                    // 000000006680: 92524752
	s_mul_i32 s61, s60, s61                                    // 000000006684: 923D3D3C
	s_add_u32 s82, s82, s61                                    // 000000006688: 80523D52
	v_mul_lo_u32 v7, v4, s82                                   // 00000000668C: D2850007 0000A504
	v_add_u32_e32 v38, v6, v7                                  // 000000006694: 684C0F06
	v_readlane_b32 s82, v3, 4                                  // 000000006698: D2890052 00010903
	s_lshr_b32 s61, s82, 24                                    // 0000000066A0: 8F3D9852
	s_and_b32 s82, s82, 0xffffff                               // 0000000066A4: 8652FF52 00FFFFFF
	s_mul_i32 s82, s82, s71                                    // 0000000066AC: 92524752
	s_mul_i32 s61, s60, s61                                    // 0000000066B0: 923D3D3C
	s_add_u32 s82, s82, s61                                    // 0000000066B4: 80523D52
	v_mul_lo_u32 v6, v5, s82                                   // 0000000066B8: D2850006 0000A505
	v_readlane_b32 s82, v3, 5                                  // 0000000066C0: D2890052 00010B03
	s_lshr_b32 s61, s82, 24                                    // 0000000066C8: 8F3D9852
	s_and_b32 s82, s82, 0xffffff                               // 0000000066CC: 8652FF52 00FFFFFF
	s_mul_i32 s82, s82, s71                                    // 0000000066D4: 92524752
	s_mul_i32 s61, s60, s61                                    // 0000000066D8: 923D3D3C
	s_add_u32 s82, s82, s61                                    // 0000000066DC: 80523D52
	v_mul_lo_u32 v7, v4, s82                                   // 0000000066E0: D2850007 0000A504
	v_add_u32_e32 v39, v6, v7                                  // 0000000066E8: 684E0F06
	v_readlane_b32 s82, v3, 6                                  // 0000000066EC: D2890052 00010D03
	s_lshr_b32 s61, s82, 24                                    // 0000000066F4: 8F3D9852
	s_and_b32 s82, s82, 0xffffff                               // 0000000066F8: 8652FF52 00FFFFFF
	s_mul_i32 s82, s82, s71                                    // 000000006700: 92524752
	s_mul_i32 s61, s60, s61                                    // 000000006704: 923D3D3C
	s_add_u32 s82, s82, s61                                    // 000000006708: 80523D52
	v_mul_lo_u32 v6, v5, s82                                   // 00000000670C: D2850006 0000A505
	v_readlane_b32 s82, v3, 7                                  // 000000006714: D2890052 00010F03
	s_lshr_b32 s61, s82, 24                                    // 00000000671C: 8F3D9852
	s_and_b32 s82, s82, 0xffffff                               // 000000006720: 8652FF52 00FFFFFF
	s_mul_i32 s82, s82, s71                                    // 000000006728: 92524752
	s_mul_i32 s61, s60, s61                                    // 00000000672C: 923D3D3C
	s_add_u32 s82, s82, s61                                    // 000000006730: 80523D52
	v_mul_lo_u32 v7, v4, s82                                   // 000000006734: D2850007 0000A504
	v_add_u32_e32 v40, v6, v7                                  // 00000000673C: 68500F06
	v_and_b32_e32 v4, 31, v0                                   // 000000006740: 2608009F
	v_lshrrev_b32_e32 v4, 1, v4                                // 000000006744: 20080881
	s_cmp_eq_u32 s88, 0                                        // 000000006748: BF068058
	s_cselect_b32 s61, 2, 4                                    // 00000000674C: 853D8482
	v_mul_lo_u32 v4, v4, s61                                   // 000000006750: D2850004 00007B04
	v_and_b32_e64 v5, v0, 1                                    // 000000006758: D1130005 00010300
	v_add_u32_e32 v4, v4, v5                                   // 000000006760: 68080B04
	v_lshlrev_b32_e32 v4, 2, v4                                // 000000006764: 24080882
	v_add_u32_e32 v37, v37, v4                                 // 000000006768: 684A0925
	v_add_u32_e32 v38, v38, v4                                 // 00000000676C: 684C0926
	v_add_u32_e32 v39, v39, v4                                 // 000000006770: 684E0927
	v_add_u32_e32 v40, v40, v4                                 // 000000006774: 68500928
	s_waitcnt lgkmcnt(0)                                       // 000000006778: BF8CC07F
	s_barrier                                                  // 00000000677C: BF8A0000
	ds_read_b32 v52, v21                                       // 000000006780: D86C0000 34000015
	ds_read_b32 v53, v21 offset:64                             // 000000006788: D86C0040 35000015
	ds_read_b32 v56, v21 offset:2176                           // 000000006790: D86C0880 38000015
	ds_read_b32 v57, v21 offset:2240                           // 000000006798: D86C08C0 39000015
	ds_read_b32 v60, v21 offset:4352                           // 0000000067A0: D86C1100 3C000015
	ds_read_b32 v61, v21 offset:4416                           // 0000000067A8: D86C1140 3D000015
	ds_read_b32 v64, v21 offset:6528                           // 0000000067B0: D86C1980 40000015
	ds_read_b32 v65, v21 offset:6592                           // 0000000067B8: D86C19C0 41000015
	ds_read_b32 v68, v21 offset:8704                           // 0000000067C0: D86C2200 44000015
	ds_read_b32 v69, v21 offset:8768                           // 0000000067C8: D86C2240 45000015
	ds_read_b32 v72, v21 offset:10880                          // 0000000067D0: D86C2A80 48000015
	ds_read_b32 v73, v21 offset:10944                          // 0000000067D8: D86C2AC0 49000015
	ds_read_b32 v76, v21 offset:13056                          // 0000000067E0: D86C3300 4C000015
	ds_read_b32 v77, v21 offset:13120                          // 0000000067E8: D86C3340 4D000015
	ds_read_b32 v80, v21 offset:15232                          // 0000000067F0: D86C3B80 50000015
	ds_read_b32 v81, v21 offset:15296                          // 0000000067F8: D86C3BC0 51000015
	ds_read_b32 v84, v21 offset:17408                          // 000000006800: D86C4400 54000015
	ds_read_b32 v85, v21 offset:17472                          // 000000006808: D86C4440 55000015
	ds_read_b32 v88, v21 offset:19584                          // 000000006810: D86C4C80 58000015
	ds_read_b32 v89, v21 offset:19648                          // 000000006818: D86C4CC0 59000015
	ds_read_b32 v92, v21 offset:21760                          // 000000006820: D86C5500 5C000015
	ds_read_b32 v93, v21 offset:21824                          // 000000006828: D86C5540 5D000015
	ds_read_b32 v96, v21 offset:23936                          // 000000006830: D86C5D80 60000015
	ds_read_b32 v97, v21 offset:24000                          // 000000006838: D86C5DC0 61000015
	ds_read_b32 v100, v21 offset:26112                         // 000000006840: D86C6600 64000015
	ds_read_b32 v101, v21 offset:26176                         // 000000006848: D86C6640 65000015
	ds_read_b32 v104, v21 offset:28288                         // 000000006850: D86C6E80 68000015
	ds_read_b32 v105, v21 offset:28352                         // 000000006858: D86C6EC0 69000015
	ds_read_b32 v108, v21 offset:30464                         // 000000006860: D86C7700 6C000015
	ds_read_b32 v109, v21 offset:30528                         // 000000006868: D86C7740 6D000015
	ds_read_b32 v112, v21 offset:32640                         // 000000006870: D86C7F80 70000015
	ds_read_b32 v113, v21 offset:32704                         // 000000006878: D86C7FC0 71000015
	s_waitcnt lgkmcnt(0)                                       // 000000006880: BF8CC07F
	s_mov_b32 s36, -1                                          // 000000006884: BEA400C1
	s_mov_b32 s37, -1                                          // 000000006888: BEA500C1
	v_mov_b32_e32 v7, 0                                        // 00000000688C: 7E0E0280
	s_mov_b64 exec, s[36:37]                                   // 000000006890: BEFE0124
	v_mov_b32_e32 v6, v37                                      // 000000006894: 7E0C0325
	s_mov_b64 s[60:61], 0                                      // 000000006898: BEBC0180
	v_readlane_b32 s82, v3, 0                                  // 00000000689C: D2890052 00010103
	s_and_b32 s82, s82, 0xffffff                               // 0000000068A4: 8652FF52 00FFFFFF
	s_cmp_lt_u32 s82, s66                                      // 0000000068AC: BF0A4252
	s_cselect_b32 s20, s36, s60                                // 0000000068B0: 85143C24
	v_readlane_b32 s82, v3, 1                                  // 0000000068B4: D2890052 00010303
	s_and_b32 s82, s82, 0xffffff                               // 0000000068BC: 8652FF52 00FFFFFF
	s_cmp_lt_u32 s82, s66                                      // 0000000068C4: BF0A4252
	s_cselect_b32 s21, s36, s60                                // 0000000068C8: 85153C24
	s_mov_b64 exec, s[20:21]                                   // 0000000068CC: BEFE0114
	global_atomic_add_f32 v6, v52, s[8:9]                      // 0000000068D0: DD348000 00083406
	global_atomic_add_f32 v6, v56, s[8:9] offset:256           // 0000000068D8: DD348100 00083806
	global_atomic_add_f32 v6, v60, s[8:9] offset:512           // 0000000068E0: DD348200 00083C06
	global_atomic_add_f32 v6, v64, s[8:9] offset:768           // 0000000068E8: DD348300 00084006
	global_atomic_add_f32 v6, v68, s[8:9] offset:1024          // 0000000068F0: DD348400 00084406
	global_atomic_add_f32 v6, v72, s[8:9] offset:1280          // 0000000068F8: DD348500 00084806
	global_atomic_add_f32 v6, v76, s[8:9] offset:1536          // 000000006900: DD348600 00084C06
	global_atomic_add_f32 v6, v80, s[8:9] offset:1792          // 000000006908: DD348700 00085006
	s_mov_b64 exec, s[36:37]                                   // 000000006910: BEFE0124
	v_mov_b32_e32 v6, v38                                      // 000000006914: 7E0C0326
	s_mov_b64 s[60:61], 0                                      // 000000006918: BEBC0180
	v_readlane_b32 s82, v3, 2                                  // 00000000691C: D2890052 00010503
	s_and_b32 s82, s82, 0xffffff                               // 000000006924: 8652FF52 00FFFFFF
	s_cmp_lt_u32 s82, s66                                      // 00000000692C: BF0A4252
	s_cselect_b32 s20, s36, s60                                // 000000006930: 85143C24
	v_readlane_b32 s82, v3, 3                                  // 000000006934: D2890052 00010703
	s_and_b32 s82, s82, 0xffffff                               // 00000000693C: 8652FF52 00FFFFFF
	s_cmp_lt_u32 s82, s66                                      // 000000006944: BF0A4252
	s_cselect_b32 s21, s36, s60                                // 000000006948: 85153C24
	s_mov_b64 exec, s[20:21]                                   // 00000000694C: BEFE0114
	global_atomic_add_f32 v6, v53, s[8:9]                      // 000000006950: DD348000 00083506
	global_atomic_add_f32 v6, v57, s[8:9] offset:256           // 000000006958: DD348100 00083906
	global_atomic_add_f32 v6, v61, s[8:9] offset:512           // 000000006960: DD348200 00083D06
	global_atomic_add_f32 v6, v65, s[8:9] offset:768           // 000000006968: DD348300 00084106
	global_atomic_add_f32 v6, v69, s[8:9] offset:1024          // 000000006970: DD348400 00084506
	global_atomic_add_f32 v6, v73, s[8:9] offset:1280          // 000000006978: DD348500 00084906
	global_atomic_add_f32 v6, v77, s[8:9] offset:1536          // 000000006980: DD348600 00084D06
	global_atomic_add_f32 v6, v81, s[8:9] offset:1792          // 000000006988: DD348700 00085106
	s_mov_b64 exec, s[36:37]                                   // 000000006990: BEFE0124
	v_mov_b32_e32 v6, v39                                      // 000000006994: 7E0C0327
	s_mov_b64 s[60:61], 0                                      // 000000006998: BEBC0180
	v_readlane_b32 s82, v3, 4                                  // 00000000699C: D2890052 00010903
	s_and_b32 s82, s82, 0xffffff                               // 0000000069A4: 8652FF52 00FFFFFF
	s_cmp_lt_u32 s82, s66                                      // 0000000069AC: BF0A4252
	s_cselect_b32 s20, s36, s60                                // 0000000069B0: 85143C24
	v_readlane_b32 s82, v3, 5                                  // 0000000069B4: D2890052 00010B03
	s_and_b32 s82, s82, 0xffffff                               // 0000000069BC: 8652FF52 00FFFFFF
	s_cmp_lt_u32 s82, s66                                      // 0000000069C4: BF0A4252
	s_cselect_b32 s21, s36, s60                                // 0000000069C8: 85153C24
	s_mov_b64 exec, s[20:21]                                   // 0000000069CC: BEFE0114
	global_atomic_add_f32 v6, v84, s[8:9]                      // 0000000069D0: DD348000 00085406
	global_atomic_add_f32 v6, v88, s[8:9] offset:256           // 0000000069D8: DD348100 00085806
	global_atomic_add_f32 v6, v92, s[8:9] offset:512           // 0000000069E0: DD348200 00085C06
	global_atomic_add_f32 v6, v96, s[8:9] offset:768           // 0000000069E8: DD348300 00086006
	global_atomic_add_f32 v6, v100, s[8:9] offset:1024         // 0000000069F0: DD348400 00086406
	global_atomic_add_f32 v6, v104, s[8:9] offset:1280         // 0000000069F8: DD348500 00086806
	global_atomic_add_f32 v6, v108, s[8:9] offset:1536         // 000000006A00: DD348600 00086C06
	global_atomic_add_f32 v6, v112, s[8:9] offset:1792         // 000000006A08: DD348700 00087006
	s_mov_b64 exec, s[36:37]                                   // 000000006A10: BEFE0124
	v_mov_b32_e32 v6, v40                                      // 000000006A14: 7E0C0328
	s_mov_b64 s[60:61], 0                                      // 000000006A18: BEBC0180
	v_readlane_b32 s82, v3, 6                                  // 000000006A1C: D2890052 00010D03
	s_and_b32 s82, s82, 0xffffff                               // 000000006A24: 8652FF52 00FFFFFF
	s_cmp_lt_u32 s82, s66                                      // 000000006A2C: BF0A4252
	s_cselect_b32 s20, s36, s60                                // 000000006A30: 85143C24
	v_readlane_b32 s82, v3, 7                                  // 000000006A34: D2890052 00010F03
	s_and_b32 s82, s82, 0xffffff                               // 000000006A3C: 8652FF52 00FFFFFF
	s_cmp_lt_u32 s82, s66                                      // 000000006A44: BF0A4252
	s_cselect_b32 s21, s36, s60                                // 000000006A48: 85153C24
	s_mov_b64 exec, s[20:21]                                   // 000000006A4C: BEFE0114
	global_atomic_add_f32 v6, v85, s[8:9]                      // 000000006A50: DD348000 00085506
	global_atomic_add_f32 v6, v89, s[8:9] offset:256           // 000000006A58: DD348100 00085906
	global_atomic_add_f32 v6, v93, s[8:9] offset:512           // 000000006A60: DD348200 00085D06
	global_atomic_add_f32 v6, v97, s[8:9] offset:768           // 000000006A68: DD348300 00086106
	global_atomic_add_f32 v6, v101, s[8:9] offset:1024         // 000000006A70: DD348400 00086506
	global_atomic_add_f32 v6, v105, s[8:9] offset:1280         // 000000006A78: DD348500 00086906
	global_atomic_add_f32 v6, v109, s[8:9] offset:1536         // 000000006A80: DD348600 00086D06
	global_atomic_add_f32 v6, v113, s[8:9] offset:1792         // 000000006A88: DD348700 00087106
	s_mov_b64 exec, s[36:37]                                   // 000000006A90: BEFE0124
	ds_write_b64 v20, v[54:55]                                 // 000000006A94: D89A0000 00003614
	ds_write_b64 v20, v[58:59] offset:17408                    // 000000006A9C: D89A4400 00003A14
	ds_write_b64 v20, v[62:63] offset:2176                     // 000000006AA4: D89A0880 00003E14
	ds_write_b64 v20, v[66:67] offset:19584                    // 000000006AAC: D89A4C80 00004214
	ds_write_b64 v20, v[70:71] offset:4352                     // 000000006AB4: D89A1100 00004614
	ds_write_b64 v20, v[74:75] offset:21760                    // 000000006ABC: D89A5500 00004A14
	ds_write_b64 v20, v[78:79] offset:6528                     // 000000006AC4: D89A1980 00004E14
	ds_write_b64 v20, v[82:83] offset:23936                    // 000000006ACC: D89A5D80 00005214
	ds_write_b64 v20, v[86:87] offset:8704                     // 000000006AD4: D89A2200 00005614
	ds_write_b64 v20, v[90:91] offset:26112                    // 000000006ADC: D89A6600 00005A14
	ds_write_b64 v20, v[94:95] offset:10880                    // 000000006AE4: D89A2A80 00005E14
	ds_write_b64 v20, v[98:99] offset:28288                    // 000000006AEC: D89A6E80 00006214
	ds_write_b64 v20, v[102:103] offset:13056                  // 000000006AF4: D89A3300 00006614
	ds_write_b64 v20, v[106:107] offset:30464                  // 000000006AFC: D89A7700 00006A14
	ds_write_b64 v20, v[110:111] offset:15232                  // 000000006B04: D89A3B80 00006E14
	ds_write_b64 v20, v[114:115] offset:32640                  // 000000006B0C: D89A7F80 00007214
	s_waitcnt lgkmcnt(0)                                       // 000000006B14: BF8CC07F
	s_barrier                                                  // 000000006B18: BF8A0000
	ds_read_b32 v54, v21                                       // 000000006B1C: D86C0000 36000015
	ds_read_b32 v55, v21 offset:64                             // 000000006B24: D86C0040 37000015
	ds_read_b32 v58, v21 offset:2176                           // 000000006B2C: D86C0880 3A000015
	ds_read_b32 v59, v21 offset:2240                           // 000000006B34: D86C08C0 3B000015
	ds_read_b32 v62, v21 offset:4352                           // 000000006B3C: D86C1100 3E000015
	ds_read_b32 v63, v21 offset:4416                           // 000000006B44: D86C1140 3F000015
	ds_read_b32 v66, v21 offset:6528                           // 000000006B4C: D86C1980 42000015
	ds_read_b32 v67, v21 offset:6592                           // 000000006B54: D86C19C0 43000015
	ds_read_b32 v70, v21 offset:8704                           // 000000006B5C: D86C2200 46000015
	ds_read_b32 v71, v21 offset:8768                           // 000000006B64: D86C2240 47000015
	ds_read_b32 v74, v21 offset:10880                          // 000000006B6C: D86C2A80 4A000015
	ds_read_b32 v75, v21 offset:10944                          // 000000006B74: D86C2AC0 4B000015
	ds_read_b32 v78, v21 offset:13056                          // 000000006B7C: D86C3300 4E000015
	ds_read_b32 v79, v21 offset:13120                          // 000000006B84: D86C3340 4F000015
	ds_read_b32 v82, v21 offset:15232                          // 000000006B8C: D86C3B80 52000015
	ds_read_b32 v83, v21 offset:15296                          // 000000006B94: D86C3BC0 53000015
	ds_read_b32 v86, v21 offset:17408                          // 000000006B9C: D86C4400 56000015
	ds_read_b32 v87, v21 offset:17472                          // 000000006BA4: D86C4440 57000015
	ds_read_b32 v90, v21 offset:19584                          // 000000006BAC: D86C4C80 5A000015
	ds_read_b32 v91, v21 offset:19648                          // 000000006BB4: D86C4CC0 5B000015
	ds_read_b32 v94, v21 offset:21760                          // 000000006BBC: D86C5500 5E000015
	ds_read_b32 v95, v21 offset:21824                          // 000000006BC4: D86C5540 5F000015
	ds_read_b32 v98, v21 offset:23936                          // 000000006BCC: D86C5D80 62000015
	ds_read_b32 v99, v21 offset:24000                          // 000000006BD4: D86C5DC0 63000015
	ds_read_b32 v102, v21 offset:26112                         // 000000006BDC: D86C6600 66000015
	ds_read_b32 v103, v21 offset:26176                         // 000000006BE4: D86C6640 67000015
	ds_read_b32 v106, v21 offset:28288                         // 000000006BEC: D86C6E80 6A000015
	ds_read_b32 v107, v21 offset:28352                         // 000000006BF4: D86C6EC0 6B000015
	ds_read_b32 v110, v21 offset:30464                         // 000000006BFC: D86C7700 6E000015
	ds_read_b32 v111, v21 offset:30528                         // 000000006C04: D86C7740 6F000015
	ds_read_b32 v114, v21 offset:32640                         // 000000006C0C: D86C7F80 72000015
	ds_read_b32 v115, v21 offset:32704                         // 000000006C14: D86C7FC0 73000015
	s_waitcnt lgkmcnt(0)                                       // 000000006C1C: BF8CC07F
	v_mov_b32_e32 v7, 0                                        // 000000006C20: 7E0E0280
	s_mov_b64 exec, s[36:37]                                   // 000000006C24: BEFE0124
	v_mov_b32_e32 v6, v37                                      // 000000006C28: 7E0C0325
	s_mov_b64 s[60:61], 0                                      // 000000006C2C: BEBC0180
	v_readlane_b32 s82, v3, 0                                  // 000000006C30: D2890052 00010103
	s_and_b32 s82, s82, 0xffffff                               // 000000006C38: 8652FF52 00FFFFFF
	s_cmp_lt_u32 s82, s66                                      // 000000006C40: BF0A4252
	s_cselect_b32 s20, s36, s60                                // 000000006C44: 85143C24
	v_readlane_b32 s82, v3, 1                                  // 000000006C48: D2890052 00010303
	s_and_b32 s82, s82, 0xffffff                               // 000000006C50: 8652FF52 00FFFFFF
	s_cmp_lt_u32 s82, s66                                      // 000000006C58: BF0A4252
	s_cselect_b32 s21, s36, s60                                // 000000006C5C: 85153C24
	s_mov_b64 exec, s[20:21]                                   // 000000006C60: BEFE0114
	global_atomic_add_f32 v6, v54, s[8:9] offset:8             // 000000006C64: DD348008 00083606
	global_atomic_add_f32 v6, v58, s[8:9] offset:264           // 000000006C6C: DD348108 00083A06
	global_atomic_add_f32 v6, v62, s[8:9] offset:520           // 000000006C74: DD348208 00083E06
	global_atomic_add_f32 v6, v66, s[8:9] offset:776           // 000000006C7C: DD348308 00084206
	global_atomic_add_f32 v6, v70, s[8:9] offset:1032          // 000000006C84: DD348408 00084606
	global_atomic_add_f32 v6, v74, s[8:9] offset:1288          // 000000006C8C: DD348508 00084A06
	global_atomic_add_f32 v6, v78, s[8:9] offset:1544          // 000000006C94: DD348608 00084E06
	global_atomic_add_f32 v6, v82, s[8:9] offset:1800          // 000000006C9C: DD348708 00085206
	s_mov_b64 exec, s[36:37]                                   // 000000006CA4: BEFE0124
	v_mov_b32_e32 v6, v38                                      // 000000006CA8: 7E0C0326
	s_mov_b64 s[60:61], 0                                      // 000000006CAC: BEBC0180
	v_readlane_b32 s82, v3, 2                                  // 000000006CB0: D2890052 00010503
	s_and_b32 s82, s82, 0xffffff                               // 000000006CB8: 8652FF52 00FFFFFF
	s_cmp_lt_u32 s82, s66                                      // 000000006CC0: BF0A4252
	s_cselect_b32 s20, s36, s60                                // 000000006CC4: 85143C24
	v_readlane_b32 s82, v3, 3                                  // 000000006CC8: D2890052 00010703
	s_and_b32 s82, s82, 0xffffff                               // 000000006CD0: 8652FF52 00FFFFFF
	s_cmp_lt_u32 s82, s66                                      // 000000006CD8: BF0A4252
	s_cselect_b32 s21, s36, s60                                // 000000006CDC: 85153C24
	s_mov_b64 exec, s[20:21]                                   // 000000006CE0: BEFE0114
	global_atomic_add_f32 v6, v55, s[8:9] offset:8             // 000000006CE4: DD348008 00083706
	global_atomic_add_f32 v6, v59, s[8:9] offset:264           // 000000006CEC: DD348108 00083B06
	global_atomic_add_f32 v6, v63, s[8:9] offset:520           // 000000006CF4: DD348208 00083F06
	global_atomic_add_f32 v6, v67, s[8:9] offset:776           // 000000006CFC: DD348308 00084306
	global_atomic_add_f32 v6, v71, s[8:9] offset:1032          // 000000006D04: DD348408 00084706
	global_atomic_add_f32 v6, v75, s[8:9] offset:1288          // 000000006D0C: DD348508 00084B06
	global_atomic_add_f32 v6, v79, s[8:9] offset:1544          // 000000006D14: DD348608 00084F06
	global_atomic_add_f32 v6, v83, s[8:9] offset:1800          // 000000006D1C: DD348708 00085306
	s_mov_b64 exec, s[36:37]                                   // 000000006D24: BEFE0124
	v_mov_b32_e32 v6, v39                                      // 000000006D28: 7E0C0327
	s_mov_b64 s[60:61], 0                                      // 000000006D2C: BEBC0180
	v_readlane_b32 s82, v3, 4                                  // 000000006D30: D2890052 00010903
	s_and_b32 s82, s82, 0xffffff                               // 000000006D38: 8652FF52 00FFFFFF
	s_cmp_lt_u32 s82, s66                                      // 000000006D40: BF0A4252
	s_cselect_b32 s20, s36, s60                                // 000000006D44: 85143C24
	v_readlane_b32 s82, v3, 5                                  // 000000006D48: D2890052 00010B03
	s_and_b32 s82, s82, 0xffffff                               // 000000006D50: 8652FF52 00FFFFFF
	s_cmp_lt_u32 s82, s66                                      // 000000006D58: BF0A4252
	s_cselect_b32 s21, s36, s60                                // 000000006D5C: 85153C24
	s_mov_b64 exec, s[20:21]                                   // 000000006D60: BEFE0114
	global_atomic_add_f32 v6, v86, s[8:9] offset:8             // 000000006D64: DD348008 00085606
	global_atomic_add_f32 v6, v90, s[8:9] offset:264           // 000000006D6C: DD348108 00085A06
	global_atomic_add_f32 v6, v94, s[8:9] offset:520           // 000000006D74: DD348208 00085E06
	global_atomic_add_f32 v6, v98, s[8:9] offset:776           // 000000006D7C: DD348308 00086206
	global_atomic_add_f32 v6, v102, s[8:9] offset:1032         // 000000006D84: DD348408 00086606
	global_atomic_add_f32 v6, v106, s[8:9] offset:1288         // 000000006D8C: DD348508 00086A06
	global_atomic_add_f32 v6, v110, s[8:9] offset:1544         // 000000006D94: DD348608 00086E06
	global_atomic_add_f32 v6, v114, s[8:9] offset:1800         // 000000006D9C: DD348708 00087206
	s_mov_b64 exec, s[36:37]                                   // 000000006DA4: BEFE0124
	v_mov_b32_e32 v6, v40                                      // 000000006DA8: 7E0C0328
	s_mov_b64 s[60:61], 0                                      // 000000006DAC: BEBC0180
	v_readlane_b32 s82, v3, 6                                  // 000000006DB0: D2890052 00010D03
	s_and_b32 s82, s82, 0xffffff                               // 000000006DB8: 8652FF52 00FFFFFF
	s_cmp_lt_u32 s82, s66                                      // 000000006DC0: BF0A4252
	s_cselect_b32 s20, s36, s60                                // 000000006DC4: 85143C24
	v_readlane_b32 s82, v3, 7                                  // 000000006DC8: D2890052 00010F03
	s_and_b32 s82, s82, 0xffffff                               // 000000006DD0: 8652FF52 00FFFFFF
	s_cmp_lt_u32 s82, s66                                      // 000000006DD8: BF0A4252
	s_cselect_b32 s21, s36, s60                                // 000000006DDC: 85153C24
	s_mov_b64 exec, s[20:21]                                   // 000000006DE0: BEFE0114
	global_atomic_add_f32 v6, v87, s[8:9] offset:8             // 000000006DE4: DD348008 00085706
	global_atomic_add_f32 v6, v91, s[8:9] offset:264           // 000000006DEC: DD348108 00085B06
	global_atomic_add_f32 v6, v95, s[8:9] offset:520           // 000000006DF4: DD348208 00085F06
	global_atomic_add_f32 v6, v99, s[8:9] offset:776           // 000000006DFC: DD348308 00086306
	global_atomic_add_f32 v6, v103, s[8:9] offset:1032         // 000000006E04: DD348408 00086706
	global_atomic_add_f32 v6, v107, s[8:9] offset:1288         // 000000006E0C: DD348508 00086B06
	global_atomic_add_f32 v6, v111, s[8:9] offset:1544         // 000000006E14: DD348608 00086F06
	global_atomic_add_f32 v6, v115, s[8:9] offset:1800         // 000000006E1C: DD348708 00087306
	s_mov_b64 exec, s[36:37]                                   // 000000006E24: BEFE0124
	ds_write_b64 v20, v[116:117]                               // 000000006E28: D89A0000 00007414
	ds_write_b64 v20, v[120:121] offset:17408                  // 000000006E30: D89A4400 00007814
	ds_write_b64 v20, v[124:125] offset:2176                   // 000000006E38: D89A0880 00007C14
	ds_write_b64 v20, v[128:129] offset:19584                  // 000000006E40: D89A4C80 00008014
	ds_write_b64 v20, v[132:133] offset:4352                   // 000000006E48: D89A1100 00008414
	ds_write_b64 v20, v[136:137] offset:21760                  // 000000006E50: D89A5500 00008814
	ds_write_b64 v20, v[140:141] offset:6528                   // 000000006E58: D89A1980 00008C14
	ds_write_b64 v20, v[144:145] offset:23936                  // 000000006E60: D89A5D80 00009014
	ds_write_b64 v20, v[148:149] offset:8704                   // 000000006E68: D89A2200 00009414
	ds_write_b64 v20, v[152:153] offset:26112                  // 000000006E70: D89A6600 00009814
	ds_write_b64 v20, v[156:157] offset:10880                  // 000000006E78: D89A2A80 00009C14
	ds_write_b64 v20, v[160:161] offset:28288                  // 000000006E80: D89A6E80 0000A014
	ds_write_b64 v20, v[164:165] offset:13056                  // 000000006E88: D89A3300 0000A414
	ds_write_b64 v20, v[168:169] offset:30464                  // 000000006E90: D89A7700 0000A814
	ds_write_b64 v20, v[172:173] offset:15232                  // 000000006E98: D89A3B80 0000AC14
	ds_write_b64 v20, v[176:177] offset:32640                  // 000000006EA0: D89A7F80 0000B014
	s_waitcnt lgkmcnt(0)                                       // 000000006EA8: BF8CC07F
	s_barrier                                                  // 000000006EAC: BF8A0000
	ds_read_b32 v116, v21                                      // 000000006EB0: D86C0000 74000015
	ds_read_b32 v117, v21 offset:64                            // 000000006EB8: D86C0040 75000015
	ds_read_b32 v120, v21 offset:2176                          // 000000006EC0: D86C0880 78000015
	ds_read_b32 v121, v21 offset:2240                          // 000000006EC8: D86C08C0 79000015
	ds_read_b32 v124, v21 offset:4352                          // 000000006ED0: D86C1100 7C000015
	ds_read_b32 v125, v21 offset:4416                          // 000000006ED8: D86C1140 7D000015
	ds_read_b32 v128, v21 offset:6528                          // 000000006EE0: D86C1980 80000015
	ds_read_b32 v129, v21 offset:6592                          // 000000006EE8: D86C19C0 81000015
	ds_read_b32 v132, v21 offset:8704                          // 000000006EF0: D86C2200 84000015
	ds_read_b32 v133, v21 offset:8768                          // 000000006EF8: D86C2240 85000015
	ds_read_b32 v136, v21 offset:10880                         // 000000006F00: D86C2A80 88000015
	ds_read_b32 v137, v21 offset:10944                         // 000000006F08: D86C2AC0 89000015
	ds_read_b32 v140, v21 offset:13056                         // 000000006F10: D86C3300 8C000015
	ds_read_b32 v141, v21 offset:13120                         // 000000006F18: D86C3340 8D000015
	ds_read_b32 v144, v21 offset:15232                         // 000000006F20: D86C3B80 90000015
	ds_read_b32 v145, v21 offset:15296                         // 000000006F28: D86C3BC0 91000015
	ds_read_b32 v148, v21 offset:17408                         // 000000006F30: D86C4400 94000015
	ds_read_b32 v149, v21 offset:17472                         // 000000006F38: D86C4440 95000015
	ds_read_b32 v152, v21 offset:19584                         // 000000006F40: D86C4C80 98000015
	ds_read_b32 v153, v21 offset:19648                         // 000000006F48: D86C4CC0 99000015
	ds_read_b32 v156, v21 offset:21760                         // 000000006F50: D86C5500 9C000015
	ds_read_b32 v157, v21 offset:21824                         // 000000006F58: D86C5540 9D000015
	ds_read_b32 v160, v21 offset:23936                         // 000000006F60: D86C5D80 A0000015
	ds_read_b32 v161, v21 offset:24000                         // 000000006F68: D86C5DC0 A1000015
	ds_read_b32 v164, v21 offset:26112                         // 000000006F70: D86C6600 A4000015
	ds_read_b32 v165, v21 offset:26176                         // 000000006F78: D86C6640 A5000015
	ds_read_b32 v168, v21 offset:28288                         // 000000006F80: D86C6E80 A8000015
	ds_read_b32 v169, v21 offset:28352                         // 000000006F88: D86C6EC0 A9000015
	ds_read_b32 v172, v21 offset:30464                         // 000000006F90: D86C7700 AC000015
	ds_read_b32 v173, v21 offset:30528                         // 000000006F98: D86C7740 AD000015
	ds_read_b32 v176, v21 offset:32640                         // 000000006FA0: D86C7F80 B0000015
	ds_read_b32 v177, v21 offset:32704                         // 000000006FA8: D86C7FC0 B1000015
	s_mul_i32 s60, s65, 4                                      // 000000006FB0: 923C8441
	s_add_u32 s8, s60, s8                                      // 000000006FB4: 8008083C
	s_addc_u32 s9, 0, s9                                       // 000000006FB8: 82090980
	s_waitcnt lgkmcnt(0)                                       // 000000006FBC: BF8CC07F
	v_mov_b32_e32 v7, 0                                        // 000000006FC0: 7E0E0280
	s_mov_b64 exec, s[36:37]                                   // 000000006FC4: BEFE0124
	v_mov_b32_e32 v6, v37                                      // 000000006FC8: 7E0C0325
	s_mov_b64 s[60:61], 0                                      // 000000006FCC: BEBC0180
	v_readlane_b32 s82, v3, 0                                  // 000000006FD0: D2890052 00010103
	s_and_b32 s82, s82, 0xffffff                               // 000000006FD8: 8652FF52 00FFFFFF
	s_cmp_lt_u32 s82, s66                                      // 000000006FE0: BF0A4252
	s_cselect_b32 s20, s36, s60                                // 000000006FE4: 85143C24
	v_readlane_b32 s82, v3, 1                                  // 000000006FE8: D2890052 00010303
	s_and_b32 s82, s82, 0xffffff                               // 000000006FF0: 8652FF52 00FFFFFF
	s_cmp_lt_u32 s82, s66                                      // 000000006FF8: BF0A4252
	s_cselect_b32 s21, s36, s60                                // 000000006FFC: 85153C24
	s_mov_b64 exec, s[20:21]                                   // 000000007000: BEFE0114
	global_atomic_add_f32 v6, v116, s[8:9]                     // 000000007004: DD348000 00087406
	global_atomic_add_f32 v6, v120, s[8:9] offset:256          // 00000000700C: DD348100 00087806
	global_atomic_add_f32 v6, v124, s[8:9] offset:512          // 000000007014: DD348200 00087C06
	global_atomic_add_f32 v6, v128, s[8:9] offset:768          // 00000000701C: DD348300 00088006
	global_atomic_add_f32 v6, v132, s[8:9] offset:1024         // 000000007024: DD348400 00088406
	global_atomic_add_f32 v6, v136, s[8:9] offset:1280         // 00000000702C: DD348500 00088806
	global_atomic_add_f32 v6, v140, s[8:9] offset:1536         // 000000007034: DD348600 00088C06
	global_atomic_add_f32 v6, v144, s[8:9] offset:1792         // 00000000703C: DD348700 00089006
	s_mov_b64 exec, s[36:37]                                   // 000000007044: BEFE0124
	v_mov_b32_e32 v6, v38                                      // 000000007048: 7E0C0326
	s_mov_b64 s[60:61], 0                                      // 00000000704C: BEBC0180
	v_readlane_b32 s82, v3, 2                                  // 000000007050: D2890052 00010503
	s_and_b32 s82, s82, 0xffffff                               // 000000007058: 8652FF52 00FFFFFF
	s_cmp_lt_u32 s82, s66                                      // 000000007060: BF0A4252
	s_cselect_b32 s20, s36, s60                                // 000000007064: 85143C24
	v_readlane_b32 s82, v3, 3                                  // 000000007068: D2890052 00010703
	s_and_b32 s82, s82, 0xffffff                               // 000000007070: 8652FF52 00FFFFFF
	s_cmp_lt_u32 s82, s66                                      // 000000007078: BF0A4252
	s_cselect_b32 s21, s36, s60                                // 00000000707C: 85153C24
	s_mov_b64 exec, s[20:21]                                   // 000000007080: BEFE0114
	global_atomic_add_f32 v6, v117, s[8:9]                     // 000000007084: DD348000 00087506
	global_atomic_add_f32 v6, v121, s[8:9] offset:256          // 00000000708C: DD348100 00087906
	global_atomic_add_f32 v6, v125, s[8:9] offset:512          // 000000007094: DD348200 00087D06
	global_atomic_add_f32 v6, v129, s[8:9] offset:768          // 00000000709C: DD348300 00088106
	global_atomic_add_f32 v6, v133, s[8:9] offset:1024         // 0000000070A4: DD348400 00088506
	global_atomic_add_f32 v6, v137, s[8:9] offset:1280         // 0000000070AC: DD348500 00088906
	global_atomic_add_f32 v6, v141, s[8:9] offset:1536         // 0000000070B4: DD348600 00088D06
	global_atomic_add_f32 v6, v145, s[8:9] offset:1792         // 0000000070BC: DD348700 00089106
	s_mov_b64 exec, s[36:37]                                   // 0000000070C4: BEFE0124
	v_mov_b32_e32 v6, v39                                      // 0000000070C8: 7E0C0327
	s_mov_b64 s[60:61], 0                                      // 0000000070CC: BEBC0180
	v_readlane_b32 s82, v3, 4                                  // 0000000070D0: D2890052 00010903
	s_and_b32 s82, s82, 0xffffff                               // 0000000070D8: 8652FF52 00FFFFFF
	s_cmp_lt_u32 s82, s66                                      // 0000000070E0: BF0A4252
	s_cselect_b32 s20, s36, s60                                // 0000000070E4: 85143C24
	v_readlane_b32 s82, v3, 5                                  // 0000000070E8: D2890052 00010B03
	s_and_b32 s82, s82, 0xffffff                               // 0000000070F0: 8652FF52 00FFFFFF
	s_cmp_lt_u32 s82, s66                                      // 0000000070F8: BF0A4252
	s_cselect_b32 s21, s36, s60                                // 0000000070FC: 85153C24
	s_mov_b64 exec, s[20:21]                                   // 000000007100: BEFE0114
	global_atomic_add_f32 v6, v148, s[8:9]                     // 000000007104: DD348000 00089406
	global_atomic_add_f32 v6, v152, s[8:9] offset:256          // 00000000710C: DD348100 00089806
	global_atomic_add_f32 v6, v156, s[8:9] offset:512          // 000000007114: DD348200 00089C06
	global_atomic_add_f32 v6, v160, s[8:9] offset:768          // 00000000711C: DD348300 0008A006
	global_atomic_add_f32 v6, v164, s[8:9] offset:1024         // 000000007124: DD348400 0008A406
	global_atomic_add_f32 v6, v168, s[8:9] offset:1280         // 00000000712C: DD348500 0008A806
	global_atomic_add_f32 v6, v172, s[8:9] offset:1536         // 000000007134: DD348600 0008AC06
	global_atomic_add_f32 v6, v176, s[8:9] offset:1792         // 00000000713C: DD348700 0008B006
	s_mov_b64 exec, s[36:37]                                   // 000000007144: BEFE0124
	v_mov_b32_e32 v6, v40                                      // 000000007148: 7E0C0328
	s_mov_b64 s[60:61], 0                                      // 00000000714C: BEBC0180
	v_readlane_b32 s82, v3, 6                                  // 000000007150: D2890052 00010D03
	s_and_b32 s82, s82, 0xffffff                               // 000000007158: 8652FF52 00FFFFFF
	s_cmp_lt_u32 s82, s66                                      // 000000007160: BF0A4252
	s_cselect_b32 s20, s36, s60                                // 000000007164: 85143C24
	v_readlane_b32 s82, v3, 7                                  // 000000007168: D2890052 00010F03
	s_and_b32 s82, s82, 0xffffff                               // 000000007170: 8652FF52 00FFFFFF
	s_cmp_lt_u32 s82, s66                                      // 000000007178: BF0A4252
	s_cselect_b32 s21, s36, s60                                // 00000000717C: 85153C24
	s_mov_b64 exec, s[20:21]                                   // 000000007180: BEFE0114
	global_atomic_add_f32 v6, v149, s[8:9]                     // 000000007184: DD348000 00089506
	global_atomic_add_f32 v6, v153, s[8:9] offset:256          // 00000000718C: DD348100 00089906
	global_atomic_add_f32 v6, v157, s[8:9] offset:512          // 000000007194: DD348200 00089D06
	global_atomic_add_f32 v6, v161, s[8:9] offset:768          // 00000000719C: DD348300 0008A106
	global_atomic_add_f32 v6, v165, s[8:9] offset:1024         // 0000000071A4: DD348400 0008A506
	global_atomic_add_f32 v6, v169, s[8:9] offset:1280         // 0000000071AC: DD348500 0008A906
	global_atomic_add_f32 v6, v173, s[8:9] offset:1536         // 0000000071B4: DD348600 0008AD06
	global_atomic_add_f32 v6, v177, s[8:9] offset:1792         // 0000000071BC: DD348700 0008B106
	s_mov_b64 exec, s[36:37]                                   // 0000000071C4: BEFE0124
	ds_write_b64 v20, v[118:119]                               // 0000000071C8: D89A0000 00007614
	ds_write_b64 v20, v[122:123] offset:17408                  // 0000000071D0: D89A4400 00007A14
	ds_write_b64 v20, v[126:127] offset:2176                   // 0000000071D8: D89A0880 00007E14
	ds_write_b64 v20, v[130:131] offset:19584                  // 0000000071E0: D89A4C80 00008214
	ds_write_b64 v20, v[134:135] offset:4352                   // 0000000071E8: D89A1100 00008614
	ds_write_b64 v20, v[138:139] offset:21760                  // 0000000071F0: D89A5500 00008A14
	ds_write_b64 v20, v[142:143] offset:6528                   // 0000000071F8: D89A1980 00008E14
	ds_write_b64 v20, v[146:147] offset:23936                  // 000000007200: D89A5D80 00009214
	ds_write_b64 v20, v[150:151] offset:8704                   // 000000007208: D89A2200 00009614
	ds_write_b64 v20, v[154:155] offset:26112                  // 000000007210: D89A6600 00009A14
	ds_write_b64 v20, v[158:159] offset:10880                  // 000000007218: D89A2A80 00009E14
	ds_write_b64 v20, v[162:163] offset:28288                  // 000000007220: D89A6E80 0000A214
	ds_write_b64 v20, v[166:167] offset:13056                  // 000000007228: D89A3300 0000A614
	ds_write_b64 v20, v[170:171] offset:30464                  // 000000007230: D89A7700 0000AA14
	ds_write_b64 v20, v[174:175] offset:15232                  // 000000007238: D89A3B80 0000AE14
	ds_write_b64 v20, v[178:179] offset:32640                  // 000000007240: D89A7F80 0000B214
	s_waitcnt lgkmcnt(0)                                       // 000000007248: BF8CC07F
	s_barrier                                                  // 00000000724C: BF8A0000
	ds_read_b32 v118, v21                                      // 000000007250: D86C0000 76000015
	ds_read_b32 v119, v21 offset:64                            // 000000007258: D86C0040 77000015
	ds_read_b32 v122, v21 offset:2176                          // 000000007260: D86C0880 7A000015
	ds_read_b32 v123, v21 offset:2240                          // 000000007268: D86C08C0 7B000015
	ds_read_b32 v126, v21 offset:4352                          // 000000007270: D86C1100 7E000015
	ds_read_b32 v127, v21 offset:4416                          // 000000007278: D86C1140 7F000015
	ds_read_b32 v130, v21 offset:6528                          // 000000007280: D86C1980 82000015
	ds_read_b32 v131, v21 offset:6592                          // 000000007288: D86C19C0 83000015
	ds_read_b32 v134, v21 offset:8704                          // 000000007290: D86C2200 86000015
	ds_read_b32 v135, v21 offset:8768                          // 000000007298: D86C2240 87000015
	ds_read_b32 v138, v21 offset:10880                         // 0000000072A0: D86C2A80 8A000015
	ds_read_b32 v139, v21 offset:10944                         // 0000000072A8: D86C2AC0 8B000015
	ds_read_b32 v142, v21 offset:13056                         // 0000000072B0: D86C3300 8E000015
	ds_read_b32 v143, v21 offset:13120                         // 0000000072B8: D86C3340 8F000015
	ds_read_b32 v146, v21 offset:15232                         // 0000000072C0: D86C3B80 92000015
	ds_read_b32 v147, v21 offset:15296                         // 0000000072C8: D86C3BC0 93000015
	ds_read_b32 v150, v21 offset:17408                         // 0000000072D0: D86C4400 96000015
	ds_read_b32 v151, v21 offset:17472                         // 0000000072D8: D86C4440 97000015
	ds_read_b32 v154, v21 offset:19584                         // 0000000072E0: D86C4C80 9A000015
	ds_read_b32 v155, v21 offset:19648                         // 0000000072E8: D86C4CC0 9B000015
	ds_read_b32 v158, v21 offset:21760                         // 0000000072F0: D86C5500 9E000015
	ds_read_b32 v159, v21 offset:21824                         // 0000000072F8: D86C5540 9F000015
	ds_read_b32 v162, v21 offset:23936                         // 000000007300: D86C5D80 A2000015
	ds_read_b32 v163, v21 offset:24000                         // 000000007308: D86C5DC0 A3000015
	ds_read_b32 v166, v21 offset:26112                         // 000000007310: D86C6600 A6000015
	ds_read_b32 v167, v21 offset:26176                         // 000000007318: D86C6640 A7000015
	ds_read_b32 v170, v21 offset:28288                         // 000000007320: D86C6E80 AA000015
	ds_read_b32 v171, v21 offset:28352                         // 000000007328: D86C6EC0 AB000015
	ds_read_b32 v174, v21 offset:30464                         // 000000007330: D86C7700 AE000015
	ds_read_b32 v175, v21 offset:30528                         // 000000007338: D86C7740 AF000015
	ds_read_b32 v178, v21 offset:32640                         // 000000007340: D86C7F80 B2000015
	ds_read_b32 v179, v21 offset:32704                         // 000000007348: D86C7FC0 B3000015
	s_waitcnt lgkmcnt(0)                                       // 000000007350: BF8CC07F
	v_mov_b32_e32 v7, 0                                        // 000000007354: 7E0E0280
	s_mov_b64 exec, s[36:37]                                   // 000000007358: BEFE0124
	v_mov_b32_e32 v6, v37                                      // 00000000735C: 7E0C0325
	s_mov_b64 s[60:61], 0                                      // 000000007360: BEBC0180
	v_readlane_b32 s82, v3, 0                                  // 000000007364: D2890052 00010103
	s_and_b32 s82, s82, 0xffffff                               // 00000000736C: 8652FF52 00FFFFFF
	s_cmp_lt_u32 s82, s66                                      // 000000007374: BF0A4252
	s_cselect_b32 s20, s36, s60                                // 000000007378: 85143C24
	v_readlane_b32 s82, v3, 1                                  // 00000000737C: D2890052 00010303
	s_and_b32 s82, s82, 0xffffff                               // 000000007384: 8652FF52 00FFFFFF
	s_cmp_lt_u32 s82, s66                                      // 00000000738C: BF0A4252
	s_cselect_b32 s21, s36, s60                                // 000000007390: 85153C24
	s_mov_b64 exec, s[20:21]                                   // 000000007394: BEFE0114
	global_atomic_add_f32 v6, v118, s[8:9] offset:8            // 000000007398: DD348008 00087606
	global_atomic_add_f32 v6, v122, s[8:9] offset:264          // 0000000073A0: DD348108 00087A06
	global_atomic_add_f32 v6, v126, s[8:9] offset:520          // 0000000073A8: DD348208 00087E06
	global_atomic_add_f32 v6, v130, s[8:9] offset:776          // 0000000073B0: DD348308 00088206
	global_atomic_add_f32 v6, v134, s[8:9] offset:1032         // 0000000073B8: DD348408 00088606
	global_atomic_add_f32 v6, v138, s[8:9] offset:1288         // 0000000073C0: DD348508 00088A06
	global_atomic_add_f32 v6, v142, s[8:9] offset:1544         // 0000000073C8: DD348608 00088E06
	global_atomic_add_f32 v6, v146, s[8:9] offset:1800         // 0000000073D0: DD348708 00089206
	s_mov_b64 exec, s[36:37]                                   // 0000000073D8: BEFE0124
	v_mov_b32_e32 v6, v38                                      // 0000000073DC: 7E0C0326
	s_mov_b64 s[60:61], 0                                      // 0000000073E0: BEBC0180
	v_readlane_b32 s82, v3, 2                                  // 0000000073E4: D2890052 00010503
	s_and_b32 s82, s82, 0xffffff                               // 0000000073EC: 8652FF52 00FFFFFF
	s_cmp_lt_u32 s82, s66                                      // 0000000073F4: BF0A4252
	s_cselect_b32 s20, s36, s60                                // 0000000073F8: 85143C24
	v_readlane_b32 s82, v3, 3                                  // 0000000073FC: D2890052 00010703
	s_and_b32 s82, s82, 0xffffff                               // 000000007404: 8652FF52 00FFFFFF
	s_cmp_lt_u32 s82, s66                                      // 00000000740C: BF0A4252
	s_cselect_b32 s21, s36, s60                                // 000000007410: 85153C24
	s_mov_b64 exec, s[20:21]                                   // 000000007414: BEFE0114
	global_atomic_add_f32 v6, v119, s[8:9] offset:8            // 000000007418: DD348008 00087706
	global_atomic_add_f32 v6, v123, s[8:9] offset:264          // 000000007420: DD348108 00087B06
	global_atomic_add_f32 v6, v127, s[8:9] offset:520          // 000000007428: DD348208 00087F06
	global_atomic_add_f32 v6, v131, s[8:9] offset:776          // 000000007430: DD348308 00088306
	global_atomic_add_f32 v6, v135, s[8:9] offset:1032         // 000000007438: DD348408 00088706
	global_atomic_add_f32 v6, v139, s[8:9] offset:1288         // 000000007440: DD348508 00088B06
	global_atomic_add_f32 v6, v143, s[8:9] offset:1544         // 000000007448: DD348608 00088F06
	global_atomic_add_f32 v6, v147, s[8:9] offset:1800         // 000000007450: DD348708 00089306
	s_mov_b64 exec, s[36:37]                                   // 000000007458: BEFE0124
	v_mov_b32_e32 v6, v39                                      // 00000000745C: 7E0C0327
	s_mov_b64 s[60:61], 0                                      // 000000007460: BEBC0180
	v_readlane_b32 s82, v3, 4                                  // 000000007464: D2890052 00010903
	s_and_b32 s82, s82, 0xffffff                               // 00000000746C: 8652FF52 00FFFFFF
	s_cmp_lt_u32 s82, s66                                      // 000000007474: BF0A4252
	s_cselect_b32 s20, s36, s60                                // 000000007478: 85143C24
	v_readlane_b32 s82, v3, 5                                  // 00000000747C: D2890052 00010B03
	s_and_b32 s82, s82, 0xffffff                               // 000000007484: 8652FF52 00FFFFFF
	s_cmp_lt_u32 s82, s66                                      // 00000000748C: BF0A4252
	s_cselect_b32 s21, s36, s60                                // 000000007490: 85153C24
	s_mov_b64 exec, s[20:21]                                   // 000000007494: BEFE0114
	global_atomic_add_f32 v6, v150, s[8:9] offset:8            // 000000007498: DD348008 00089606
	global_atomic_add_f32 v6, v154, s[8:9] offset:264          // 0000000074A0: DD348108 00089A06
	global_atomic_add_f32 v6, v158, s[8:9] offset:520          // 0000000074A8: DD348208 00089E06
	global_atomic_add_f32 v6, v162, s[8:9] offset:776          // 0000000074B0: DD348308 0008A206
	global_atomic_add_f32 v6, v166, s[8:9] offset:1032         // 0000000074B8: DD348408 0008A606
	global_atomic_add_f32 v6, v170, s[8:9] offset:1288         // 0000000074C0: DD348508 0008AA06
	global_atomic_add_f32 v6, v174, s[8:9] offset:1544         // 0000000074C8: DD348608 0008AE06
	global_atomic_add_f32 v6, v178, s[8:9] offset:1800         // 0000000074D0: DD348708 0008B206
	s_mov_b64 exec, s[36:37]                                   // 0000000074D8: BEFE0124
	v_mov_b32_e32 v6, v40                                      // 0000000074DC: 7E0C0328
	s_mov_b64 s[60:61], 0                                      // 0000000074E0: BEBC0180
	v_readlane_b32 s82, v3, 6                                  // 0000000074E4: D2890052 00010D03
	s_and_b32 s82, s82, 0xffffff                               // 0000000074EC: 8652FF52 00FFFFFF
	s_cmp_lt_u32 s82, s66                                      // 0000000074F4: BF0A4252
	s_cselect_b32 s20, s36, s60                                // 0000000074F8: 85143C24
	v_readlane_b32 s82, v3, 7                                  // 0000000074FC: D2890052 00010F03
	s_and_b32 s82, s82, 0xffffff                               // 000000007504: 8652FF52 00FFFFFF
	s_cmp_lt_u32 s82, s66                                      // 00000000750C: BF0A4252
	s_cselect_b32 s21, s36, s60                                // 000000007510: 85153C24
	s_mov_b64 exec, s[20:21]                                   // 000000007514: BEFE0114
	global_atomic_add_f32 v6, v151, s[8:9] offset:8            // 000000007518: DD348008 00089706
	global_atomic_add_f32 v6, v155, s[8:9] offset:264          // 000000007520: DD348108 00089B06
	global_atomic_add_f32 v6, v159, s[8:9] offset:520          // 000000007528: DD348208 00089F06
	global_atomic_add_f32 v6, v163, s[8:9] offset:776          // 000000007530: DD348308 0008A306
	global_atomic_add_f32 v6, v167, s[8:9] offset:1032         // 000000007538: DD348408 0008A706
	global_atomic_add_f32 v6, v171, s[8:9] offset:1288         // 000000007540: DD348508 0008AB06
	global_atomic_add_f32 v6, v175, s[8:9] offset:1544         // 000000007548: DD348608 0008AF06
	global_atomic_add_f32 v6, v179, s[8:9] offset:1800         // 000000007550: DD348708 0008B306
	s_mov_b64 exec, s[36:37]                                   // 000000007558: BEFE0124
	s_branch label_2369                                        // 00000000755C: BF82108E

0000000000007560 <label_12DB>:
	s_waitcnt vmcnt(14) lgkmcnt(0)                             // 000000007560: BF8C007E
	s_barrier                                                  // 000000007564: BF8A0000
	v_mfma_i32_16x16x32_i8 v[52:55], a[32:33], a[0:1], v[52:55]// 000000007568: D3D70034 1CD20120
	buffer_load_dwordx4 a[96:99], v41, s[84:87], 0 offen       // 000000007570: E05C1000 80956029
	v_mfma_i32_16x16x32_i8 v[52:55], a[34:35], a[2:3], v[52:55]// 000000007578: D3D70034 1CD20522
	v_mfma_i32_16x16x32_i8 v[52:55], a[36:37], a[4:5], v[52:55]// 000000007580: D3D70034 1CD20924
	v_mfma_i32_16x16x32_i8 v[52:55], a[38:39], a[6:7], v[52:55]// 000000007588: D3D70034 1CD20D26
	v_mfma_i32_16x16x32_i8 v[56:59], a[32:33], a[8:9], v[56:59]// 000000007590: D3D70038 1CE21120
	buffer_load_dwordx4 a[100:103], v41, s[84:87], 0 offen offset:1024// 000000007598: E05C1400 80956429
	v_mfma_i32_16x16x32_i8 v[56:59], a[34:35], a[10:11], v[56:59]// 0000000075A0: D3D70038 1CE21522
	v_mfma_i32_16x16x32_i8 v[56:59], a[36:37], a[12:13], v[56:59]// 0000000075A8: D3D70038 1CE21924
	v_mfma_i32_16x16x32_i8 v[56:59], a[38:39], a[14:15], v[56:59]// 0000000075B0: D3D70038 1CE21D26
	s_waitcnt vmcnt(14)                                        // 0000000075B8: BF8C0F7E
	v_mfma_i32_16x16x32_i8 v[60:63], a[40:41], a[0:1], v[60:63]// 0000000075BC: D3D7003C 1CF20128
	buffer_load_dwordx4 a[104:107], v42, s[84:87], 0 offen     // 0000000075C4: E05C1000 8095682A
	v_mfma_i32_16x16x32_i8 v[60:63], a[42:43], a[2:3], v[60:63]// 0000000075CC: D3D7003C 1CF2052A
	v_mfma_i32_16x16x32_i8 v[60:63], a[44:45], a[4:5], v[60:63]// 0000000075D4: D3D7003C 1CF2092C
	v_mfma_i32_16x16x32_i8 v[60:63], a[46:47], a[6:7], v[60:63]// 0000000075DC: D3D7003C 1CF20D2E
	v_mfma_i32_16x16x32_i8 v[64:67], a[40:41], a[8:9], v[64:67]// 0000000075E4: D3D70040 1D021128
	buffer_load_dwordx4 a[108:111], v42, s[84:87], 0 offen offset:1024// 0000000075EC: E05C1400 80956C2A
	v_mfma_i32_16x16x32_i8 v[64:67], a[42:43], a[10:11], v[64:67]// 0000000075F4: D3D70040 1D02152A
	v_mfma_i32_16x16x32_i8 v[64:67], a[44:45], a[12:13], v[64:67]// 0000000075FC: D3D70040 1D02192C
	v_mfma_i32_16x16x32_i8 v[64:67], a[46:47], a[14:15], v[64:67]// 000000007604: D3D70040 1D021D2E
	s_waitcnt vmcnt(14)                                        // 00000000760C: BF8C0F7E
	v_mfma_i32_16x16x32_i8 v[68:71], a[48:49], a[0:1], v[68:71]// 000000007610: D3D70044 1D120130
	buffer_load_dwordx4 a[112:115], v43, s[84:87], 0 offen     // 000000007618: E05C1000 8095702B
	v_mfma_i32_16x16x32_i8 v[68:71], a[50:51], a[2:3], v[68:71]// 000000007620: D3D70044 1D120532
	v_mfma_i32_16x16x32_i8 v[68:71], a[52:53], a[4:5], v[68:71]// 000000007628: D3D70044 1D120934
	v_mfma_i32_16x16x32_i8 v[68:71], a[54:55], a[6:7], v[68:71]// 000000007630: D3D70044 1D120D36
	v_mfma_i32_16x16x32_i8 v[72:75], a[48:49], a[8:9], v[72:75]// 000000007638: D3D70048 1D221130
	buffer_load_dwordx4 a[116:119], v43, s[84:87], 0 offen offset:1024// 000000007640: E05C1400 8095742B
	v_mfma_i32_16x16x32_i8 v[72:75], a[50:51], a[10:11], v[72:75]// 000000007648: D3D70048 1D221532
	v_mfma_i32_16x16x32_i8 v[72:75], a[52:53], a[12:13], v[72:75]// 000000007650: D3D70048 1D221934
	v_mfma_i32_16x16x32_i8 v[72:75], a[54:55], a[14:15], v[72:75]// 000000007658: D3D70048 1D221D36
	s_waitcnt vmcnt(14)                                        // 000000007660: BF8C0F7E
	v_mfma_i32_16x16x32_i8 v[76:79], a[56:57], a[0:1], v[76:79]// 000000007664: D3D7004C 1D320138
	buffer_load_dwordx4 a[120:123], v44, s[84:87], 0 offen     // 00000000766C: E05C1000 8095782C
	v_mfma_i32_16x16x32_i8 v[76:79], a[58:59], a[2:3], v[76:79]// 000000007674: D3D7004C 1D32053A
	v_mfma_i32_16x16x32_i8 v[76:79], a[60:61], a[4:5], v[76:79]// 00000000767C: D3D7004C 1D32093C
	v_mfma_i32_16x16x32_i8 v[76:79], a[62:63], a[6:7], v[76:79]// 000000007684: D3D7004C 1D320D3E
	v_mfma_i32_16x16x32_i8 v[80:83], a[56:57], a[8:9], v[80:83]// 00000000768C: D3D70050 1D421138
	buffer_load_dwordx4 a[124:127], v44, s[84:87], 0 offen offset:1024// 000000007694: E05C1400 80957C2C
	v_mfma_i32_16x16x32_i8 v[80:83], a[58:59], a[10:11], v[80:83]// 00000000769C: D3D70050 1D42153A
	v_mfma_i32_16x16x32_i8 v[80:83], a[60:61], a[12:13], v[80:83]// 0000000076A4: D3D70050 1D42193C
	v_mfma_i32_16x16x32_i8 v[80:83], a[62:63], a[14:15], v[80:83]// 0000000076AC: D3D70050 1D421D3E
	s_waitcnt vmcnt(14)                                        // 0000000076B4: BF8C0F7E
	v_mfma_i32_16x16x32_i8 v[84:87], a[64:65], a[0:1], v[84:87]// 0000000076B8: D3D70054 1D520140
	buffer_load_dwordx4 a[128:131], v45, s[84:87], 0 offen     // 0000000076C0: E05C1000 8095802D
	v_mfma_i32_16x16x32_i8 v[84:87], a[66:67], a[2:3], v[84:87]// 0000000076C8: D3D70054 1D520542
	v_mfma_i32_16x16x32_i8 v[84:87], a[68:69], a[4:5], v[84:87]// 0000000076D0: D3D70054 1D520944
	v_mfma_i32_16x16x32_i8 v[84:87], a[70:71], a[6:7], v[84:87]// 0000000076D8: D3D70054 1D520D46
	v_mfma_i32_16x16x32_i8 v[88:91], a[64:65], a[8:9], v[88:91]// 0000000076E0: D3D70058 1D621140
	buffer_load_dwordx4 a[132:135], v45, s[84:87], 0 offen offset:1024// 0000000076E8: E05C1400 8095842D
	v_mfma_i32_16x16x32_i8 v[88:91], a[66:67], a[10:11], v[88:91]// 0000000076F0: D3D70058 1D621542
	v_mfma_i32_16x16x32_i8 v[88:91], a[68:69], a[12:13], v[88:91]// 0000000076F8: D3D70058 1D621944
	v_mfma_i32_16x16x32_i8 v[88:91], a[70:71], a[14:15], v[88:91]// 000000007700: D3D70058 1D621D46
	s_waitcnt vmcnt(14)                                        // 000000007708: BF8C0F7E
	v_mfma_i32_16x16x32_i8 v[92:95], a[72:73], a[0:1], v[92:95]// 00000000770C: D3D7005C 1D720148
	buffer_load_dwordx4 a[136:139], v46, s[84:87], 0 offen     // 000000007714: E05C1000 8095882E
	v_mfma_i32_16x16x32_i8 v[92:95], a[74:75], a[2:3], v[92:95]// 00000000771C: D3D7005C 1D72054A
	v_mfma_i32_16x16x32_i8 v[92:95], a[76:77], a[4:5], v[92:95]// 000000007724: D3D7005C 1D72094C
	v_mfma_i32_16x16x32_i8 v[92:95], a[78:79], a[6:7], v[92:95]// 00000000772C: D3D7005C 1D720D4E
	v_mfma_i32_16x16x32_i8 v[96:99], a[72:73], a[8:9], v[96:99]// 000000007734: D3D70060 1D821148
	buffer_load_dwordx4 a[140:143], v46, s[84:87], 0 offen offset:1024// 00000000773C: E05C1400 80958C2E
	v_mfma_i32_16x16x32_i8 v[96:99], a[74:75], a[10:11], v[96:99]// 000000007744: D3D70060 1D82154A
	v_mfma_i32_16x16x32_i8 v[96:99], a[76:77], a[12:13], v[96:99]// 00000000774C: D3D70060 1D82194C
	v_mfma_i32_16x16x32_i8 v[96:99], a[78:79], a[14:15], v[96:99]// 000000007754: D3D70060 1D821D4E
	s_waitcnt vmcnt(14)                                        // 00000000775C: BF8C0F7E
	v_mfma_i32_16x16x32_i8 v[100:103], a[80:81], a[0:1], v[100:103]// 000000007760: D3D70064 1D920150
	buffer_load_dwordx4 a[144:147], v47, s[84:87], 0 offen     // 000000007768: E05C1000 8095902F
	v_mfma_i32_16x16x32_i8 v[100:103], a[82:83], a[2:3], v[100:103]// 000000007770: D3D70064 1D920552
	v_mfma_i32_16x16x32_i8 v[100:103], a[84:85], a[4:5], v[100:103]// 000000007778: D3D70064 1D920954
	v_mfma_i32_16x16x32_i8 v[100:103], a[86:87], a[6:7], v[100:103]// 000000007780: D3D70064 1D920D56
	v_mfma_i32_16x16x32_i8 v[104:107], a[80:81], a[8:9], v[104:107]// 000000007788: D3D70068 1DA21150
	buffer_load_dwordx4 a[148:151], v47, s[84:87], 0 offen offset:1024// 000000007790: E05C1400 8095942F
	v_mfma_i32_16x16x32_i8 v[104:107], a[82:83], a[10:11], v[104:107]// 000000007798: D3D70068 1DA21552
	v_mfma_i32_16x16x32_i8 v[104:107], a[84:85], a[12:13], v[104:107]// 0000000077A0: D3D70068 1DA21954
	v_mfma_i32_16x16x32_i8 v[104:107], a[86:87], a[14:15], v[104:107]// 0000000077A8: D3D70068 1DA21D56
	s_waitcnt vmcnt(14)                                        // 0000000077B0: BF8C0F7E
	v_mfma_i32_16x16x32_i8 v[108:111], a[88:89], a[0:1], v[108:111]// 0000000077B4: D3D7006C 1DB20158
	buffer_load_dwordx4 a[152:155], v48, s[84:87], 0 offen     // 0000000077BC: E05C1000 80959830
	v_mfma_i32_16x16x32_i8 v[108:111], a[90:91], a[2:3], v[108:111]// 0000000077C4: D3D7006C 1DB2055A
	v_mfma_i32_16x16x32_i8 v[108:111], a[92:93], a[4:5], v[108:111]// 0000000077CC: D3D7006C 1DB2095C
	v_mfma_i32_16x16x32_i8 v[108:111], a[94:95], a[6:7], v[108:111]// 0000000077D4: D3D7006C 1DB20D5E
	v_mfma_i32_16x16x32_i8 v[112:115], a[88:89], a[8:9], v[112:115]// 0000000077DC: D3D70070 1DC21158
	buffer_load_dwordx4 a[156:159], v48, s[84:87], 0 offen offset:1024// 0000000077E4: E05C1400 80959C30
	buffer_load_dword v37, s[20:23], 0 offen lds               // 0000000077EC: E0511000 80050025
	s_add_u32 m0, 0x100, s48                                   // 0000000077F4: 807C30FF 00000100
	v_mfma_i32_16x16x32_i8 v[112:115], a[90:91], a[10:11], v[112:115]// 0000000077FC: D3D70070 1DC2155A
	s_add_u32 s60, 0x80, s80                                   // 000000007804: 803C50FF 00000080
	s_cmp_lt_u32 s60, s81                                      // 00000000780C: BF0A513C
	s_cselect_b32 s83, s83, 0                                  // 000000007810: 85538053
	v_mfma_i32_16x16x32_i8 v[112:115], a[92:93], a[12:13], v[112:115]// 000000007814: D3D70070 1DC2195C
	buffer_load_dword v38, s[20:23], 0 offen lds               // 00000000781C: E0511000 80050026
	s_add_u32 m0, 0x200, s48                                   // 000000007824: 807C30FF 00000200
	v_mfma_i32_16x16x32_i8 v[112:115], a[94:95], a[14:15], v[112:115]// 00000000782C: D3D70070 1DC21D5E
	buffer_load_dword v39, s[20:23], 0 offen lds               // 000000007834: E0511000 80050027
	s_add_u32 m0, 0x300, s48                                   // 00000000783C: 807C30FF 00000300
	buffer_load_dword v40, s[20:23], 0 offen lds               // 000000007844: E0511000 80050028
	s_add_u32 m0, 0, s49                                       // 00000000784C: 807C3180
	s_waitcnt vmcnt(4)                                         // 000000007850: BF8C0F74
	v_mfma_i32_16x16x32_i8 v[116:119], a[96:97], a[0:1], v[116:119]// 000000007854: D3D70074 1DD20160
	buffer_load_dwordx4 a[32:35], v41, s[24:27], 0 offen       // 00000000785C: E05C1000 80862029
	v_mfma_i32_16x16x32_i8 v[116:119], a[98:99], a[2:3], v[116:119]// 000000007864: D3D70074 1DD20562
	v_mfma_i32_16x16x32_i8 v[116:119], a[100:101], a[4:5], v[116:119]// 00000000786C: D3D70074 1DD20964
	ds_read_b128 a[16:19], v2 offset:4224                      // 000000007874: DBFE1080 10000002
	ds_read_b128 a[20:23], v2 offset:4288                      // 00000000787C: DBFE10C0 14000002
	v_mfma_i32_16x16x32_i8 v[116:119], a[102:103], a[6:7], v[116:119]// 000000007884: D3D70074 1DD20D66
	v_mfma_i32_16x16x32_i8 v[124:127], a[104:105], a[0:1], v[124:127]// 00000000788C: D3D7007C 1DF20168
	buffer_load_dwordx4 a[36:39], v41, s[24:27], 0 offen offset:1024// 000000007894: E05C1400 80862429
	v_mfma_i32_16x16x32_i8 v[124:127], a[106:107], a[2:3], v[124:127]// 00000000789C: D3D7007C 1DF2056A
	v_mfma_i32_16x16x32_i8 v[124:127], a[108:109], a[4:5], v[124:127]// 0000000078A4: D3D7007C 1DF2096C
	ds_read_b128 a[24:27], v2 offset:4736                      // 0000000078AC: DBFE1280 18000002
	ds_read_b128 a[28:31], v2 offset:4800                      // 0000000078B4: DBFE12C0 1C000002
	v_mfma_i32_16x16x32_i8 v[124:127], a[110:111], a[6:7], v[124:127]// 0000000078BC: D3D7007C 1DF20D6E
	v_mfma_i32_16x16x32_i8 v[132:135], a[112:113], a[0:1], v[132:135]// 0000000078C4: D3D70084 1E120170
	buffer_load_dwordx4 a[40:43], v42, s[24:27], 0 offen       // 0000000078CC: E05C1000 8086282A
	v_mfma_i32_16x16x32_i8 v[132:135], a[114:115], a[2:3], v[132:135]// 0000000078D4: D3D70084 1E120572
	v_mfma_i32_16x16x32_i8 v[132:135], a[116:117], a[4:5], v[132:135]// 0000000078DC: D3D70084 1E120974
	v_mfma_i32_16x16x32_i8 v[132:135], a[118:119], a[6:7], v[132:135]// 0000000078E4: D3D70084 1E120D76
	v_mfma_i32_16x16x32_i8 v[140:143], a[120:121], a[0:1], v[140:143]// 0000000078EC: D3D7008C 1E320178
	buffer_load_dwordx4 a[44:47], v42, s[24:27], 0 offen offset:1024// 0000000078F4: E05C1400 80862C2A
	v_mfma_i32_16x16x32_i8 v[140:143], a[122:123], a[2:3], v[140:143]// 0000000078FC: D3D7008C 1E32057A
	v_mfma_i32_16x16x32_i8 v[140:143], a[124:125], a[4:5], v[140:143]// 000000007904: D3D7008C 1E32097C
	v_mfma_i32_16x16x32_i8 v[140:143], a[126:127], a[6:7], v[140:143]// 00000000790C: D3D7008C 1E320D7E
	v_mfma_i32_16x16x32_i8 v[148:151], a[128:129], a[0:1], v[148:151]// 000000007914: D3D70094 1E520180
	buffer_load_dwordx4 a[48:51], v43, s[24:27], 0 offen       // 00000000791C: E05C1000 8086302B
	v_mfma_i32_16x16x32_i8 v[148:151], a[130:131], a[2:3], v[148:151]// 000000007924: D3D70094 1E520582
	v_mfma_i32_16x16x32_i8 v[148:151], a[132:133], a[4:5], v[148:151]// 00000000792C: D3D70094 1E520984
	v_mfma_i32_16x16x32_i8 v[148:151], a[134:135], a[6:7], v[148:151]// 000000007934: D3D70094 1E520D86
	v_mfma_i32_16x16x32_i8 v[156:159], a[136:137], a[0:1], v[156:159]// 00000000793C: D3D7009C 1E720188
	buffer_load_dwordx4 a[52:55], v43, s[24:27], 0 offen offset:1024// 000000007944: E05C1400 8086342B
	v_mfma_i32_16x16x32_i8 v[156:159], a[138:139], a[2:3], v[156:159]// 00000000794C: D3D7009C 1E72058A
	v_mfma_i32_16x16x32_i8 v[156:159], a[140:141], a[4:5], v[156:159]// 000000007954: D3D7009C 1E72098C
	v_mfma_i32_16x16x32_i8 v[156:159], a[142:143], a[6:7], v[156:159]// 00000000795C: D3D7009C 1E720D8E
	v_mfma_i32_16x16x32_i8 v[164:167], a[144:145], a[0:1], v[164:167]// 000000007964: D3D700A4 1E920190
	buffer_load_dwordx4 a[56:59], v44, s[24:27], 0 offen       // 00000000796C: E05C1000 8086382C
	v_mfma_i32_16x16x32_i8 v[164:167], a[146:147], a[2:3], v[164:167]// 000000007974: D3D700A4 1E920592
	v_mfma_i32_16x16x32_i8 v[164:167], a[148:149], a[4:5], v[164:167]// 00000000797C: D3D700A4 1E920994
	v_mfma_i32_16x16x32_i8 v[164:167], a[150:151], a[6:7], v[164:167]// 000000007984: D3D700A4 1E920D96
	v_mfma_i32_16x16x32_i8 v[172:175], a[152:153], a[0:1], v[172:175]// 00000000798C: D3D700AC 1EB20198
	buffer_load_dwordx4 a[60:63], v44, s[24:27], 0 offen offset:1024// 000000007994: E05C1400 80863C2C
	v_mfma_i32_16x16x32_i8 v[172:175], a[154:155], a[2:3], v[172:175]// 00000000799C: D3D700AC 1EB2059A
	v_mfma_i32_16x16x32_i8 v[172:175], a[156:157], a[4:5], v[172:175]// 0000000079A4: D3D700AC 1EB2099C
	v_mfma_i32_16x16x32_i8 v[172:175], a[158:159], a[6:7], v[172:175]// 0000000079AC: D3D700AC 1EB20D9E
	v_mfma_i32_16x16x32_i8 v[120:123], a[96:97], a[8:9], v[120:123]// 0000000079B4: D3D70078 1DE21160
	buffer_load_dwordx4 a[64:67], v45, s[24:27], 0 offen       // 0000000079BC: E05C1000 8086402D
	v_mfma_i32_16x16x32_i8 v[120:123], a[98:99], a[10:11], v[120:123]// 0000000079C4: D3D70078 1DE21562
	v_mfma_i32_16x16x32_i8 v[120:123], a[100:101], a[12:13], v[120:123]// 0000000079CC: D3D70078 1DE21964
	v_mfma_i32_16x16x32_i8 v[120:123], a[102:103], a[14:15], v[120:123]// 0000000079D4: D3D70078 1DE21D66
	v_mfma_i32_16x16x32_i8 v[128:131], a[104:105], a[8:9], v[128:131]// 0000000079DC: D3D70080 1E021168
	buffer_load_dwordx4 a[68:71], v45, s[24:27], 0 offen offset:1024// 0000000079E4: E05C1400 8086442D
	v_mfma_i32_16x16x32_i8 v[128:131], a[106:107], a[10:11], v[128:131]// 0000000079EC: D3D70080 1E02156A
	v_mfma_i32_16x16x32_i8 v[128:131], a[108:109], a[12:13], v[128:131]// 0000000079F4: D3D70080 1E02196C
	v_mfma_i32_16x16x32_i8 v[128:131], a[110:111], a[14:15], v[128:131]// 0000000079FC: D3D70080 1E021D6E
	v_mfma_i32_16x16x32_i8 v[136:139], a[112:113], a[8:9], v[136:139]// 000000007A04: D3D70088 1E221170
	buffer_load_dwordx4 a[72:75], v46, s[24:27], 0 offen       // 000000007A0C: E05C1000 8086482E
	v_mfma_i32_16x16x32_i8 v[136:139], a[114:115], a[10:11], v[136:139]// 000000007A14: D3D70088 1E221572
	v_mfma_i32_16x16x32_i8 v[136:139], a[116:117], a[12:13], v[136:139]// 000000007A1C: D3D70088 1E221974
	v_mfma_i32_16x16x32_i8 v[136:139], a[118:119], a[14:15], v[136:139]// 000000007A24: D3D70088 1E221D76
	v_mfma_i32_16x16x32_i8 v[144:147], a[120:121], a[8:9], v[144:147]// 000000007A2C: D3D70090 1E421178
	buffer_load_dwordx4 a[76:79], v46, s[24:27], 0 offen offset:1024// 000000007A34: E05C1400 80864C2E
	v_mfma_i32_16x16x32_i8 v[144:147], a[122:123], a[10:11], v[144:147]// 000000007A3C: D3D70090 1E42157A
	v_mfma_i32_16x16x32_i8 v[144:147], a[124:125], a[12:13], v[144:147]// 000000007A44: D3D70090 1E42197C
	v_mfma_i32_16x16x32_i8 v[144:147], a[126:127], a[14:15], v[144:147]// 000000007A4C: D3D70090 1E421D7E
	v_mfma_i32_16x16x32_i8 v[152:155], a[128:129], a[8:9], v[152:155]// 000000007A54: D3D70098 1E621180
	buffer_load_dwordx4 a[80:83], v47, s[24:27], 0 offen       // 000000007A5C: E05C1000 8086502F
	v_mfma_i32_16x16x32_i8 v[152:155], a[130:131], a[10:11], v[152:155]// 000000007A64: D3D70098 1E621582
	v_mfma_i32_16x16x32_i8 v[152:155], a[132:133], a[12:13], v[152:155]// 000000007A6C: D3D70098 1E621984
	v_mfma_i32_16x16x32_i8 v[152:155], a[134:135], a[14:15], v[152:155]// 000000007A74: D3D70098 1E621D86
	v_mfma_i32_16x16x32_i8 v[160:163], a[136:137], a[8:9], v[160:163]// 000000007A7C: D3D700A0 1E821188
	buffer_load_dwordx4 a[84:87], v47, s[24:27], 0 offen offset:1024// 000000007A84: E05C1400 8086542F
	v_mfma_i32_16x16x32_i8 v[160:163], a[138:139], a[10:11], v[160:163]// 000000007A8C: D3D700A0 1E82158A
	v_mfma_i32_16x16x32_i8 v[160:163], a[140:141], a[12:13], v[160:163]// 000000007A94: D3D700A0 1E82198C
	v_mfma_i32_16x16x32_i8 v[160:163], a[142:143], a[14:15], v[160:163]// 000000007A9C: D3D700A0 1E821D8E
	v_mfma_i32_16x16x32_i8 v[168:171], a[144:145], a[8:9], v[168:171]// 000000007AA4: D3D700A8 1EA21190
	buffer_load_dwordx4 a[88:91], v48, s[24:27], 0 offen       // 000000007AAC: E05C1000 80865830
	v_mfma_i32_16x16x32_i8 v[168:171], a[146:147], a[10:11], v[168:171]// 000000007AB4: D3D700A8 1EA21592
	v_mfma_i32_16x16x32_i8 v[168:171], a[148:149], a[12:13], v[168:171]// 000000007ABC: D3D700A8 1EA21994
	s_add_u32 s60, 0x180, s80                                  // 000000007AC4: 803C50FF 00000180
	s_cmp_lt_u32 s60, s81                                      // 000000007ACC: BF0A513C
	s_cselect_b32 s57, s57, 0                                  // 000000007AD0: 85398039
	v_mfma_i32_16x16x32_i8 v[168:171], a[150:151], a[14:15], v[168:171]// 000000007AD4: D3D700A8 1EA21D96
	s_add_u32 s60, 0x100, s80                                  // 000000007ADC: 803C50FF 00000100
	s_cmp_lt_u32 s60, s81                                      // 000000007AE4: BF0A513C
	s_cselect_b32 s58, s58, 0                                  // 000000007AE8: 853A803A
	v_mfma_i32_16x16x32_i8 v[176:179], a[152:153], a[8:9], v[176:179]// 000000007AEC: D3D700B0 1EC21198
	buffer_load_dwordx4 a[92:95], v48, s[24:27], 0 offen offset:1024// 000000007AF4: E05C1400 80865C30
	s_add_u32 s24, s58, s24                                    // 000000007AFC: 8018183A
	s_addc_u32 s25, 0, s25                                     // 000000007B00: 82191980
	v_mfma_i32_16x16x32_i8 v[176:179], a[154:155], a[10:11], v[176:179]// 000000007B04: D3D700B0 1EC2159A
	s_add_u32 s20, s57, s20                                    // 000000007B0C: 80141439
	s_addc_u32 s21, 0, s21                                     // 000000007B10: 82151580
	v_mfma_i32_16x16x32_i8 v[176:179], a[156:157], a[12:13], v[176:179]// 000000007B14: D3D700B0 1EC2199C
	s_add_u32 s84, s83, s84                                    // 000000007B1C: 80545453
	s_addc_u32 s85, 0, s85                                     // 000000007B20: 82555580
	v_mfma_i32_16x16x32_i8 v[176:179], a[158:159], a[14:15], v[176:179]// 000000007B24: D3D700B0 1EC21D9E
	s_addk_i32 s80, 0x80                                       // 000000007B2C: B7500080
	s_cmp_lt_i32 s80, s81                                      // 000000007B30: BF045150
	s_cbranch_scc0 label_15C8                                  // 000000007B34: BF840177
	s_waitcnt vmcnt(14) lgkmcnt(0)                             // 000000007B38: BF8C007E
	s_barrier                                                  // 000000007B3C: BF8A0000
	v_mfma_i32_16x16x32_i8 v[52:55], a[32:33], a[16:17], v[52:55]// 000000007B40: D3D70034 1CD22120
	buffer_load_dwordx4 a[96:99], v41, s[84:87], 0 offen       // 000000007B48: E05C1000 80956029
	v_mfma_i32_16x16x32_i8 v[52:55], a[34:35], a[18:19], v[52:55]// 000000007B50: D3D70034 1CD22522
	v_mfma_i32_16x16x32_i8 v[52:55], a[36:37], a[20:21], v[52:55]// 000000007B58: D3D70034 1CD22924
	v_mfma_i32_16x16x32_i8 v[52:55], a[38:39], a[22:23], v[52:55]// 000000007B60: D3D70034 1CD22D26
	v_mfma_i32_16x16x32_i8 v[56:59], a[32:33], a[24:25], v[56:59]// 000000007B68: D3D70038 1CE23120
	buffer_load_dwordx4 a[100:103], v41, s[84:87], 0 offen offset:1024// 000000007B70: E05C1400 80956429
	v_mfma_i32_16x16x32_i8 v[56:59], a[34:35], a[26:27], v[56:59]// 000000007B78: D3D70038 1CE23522
	v_mfma_i32_16x16x32_i8 v[56:59], a[36:37], a[28:29], v[56:59]// 000000007B80: D3D70038 1CE23924
	v_mfma_i32_16x16x32_i8 v[56:59], a[38:39], a[30:31], v[56:59]// 000000007B88: D3D70038 1CE23D26
	s_waitcnt vmcnt(14)                                        // 000000007B90: BF8C0F7E
	v_mfma_i32_16x16x32_i8 v[60:63], a[40:41], a[16:17], v[60:63]// 000000007B94: D3D7003C 1CF22128
	buffer_load_dwordx4 a[104:107], v42, s[84:87], 0 offen     // 000000007B9C: E05C1000 8095682A
	v_mfma_i32_16x16x32_i8 v[60:63], a[42:43], a[18:19], v[60:63]// 000000007BA4: D3D7003C 1CF2252A
	v_mfma_i32_16x16x32_i8 v[60:63], a[44:45], a[20:21], v[60:63]// 000000007BAC: D3D7003C 1CF2292C
	v_mfma_i32_16x16x32_i8 v[60:63], a[46:47], a[22:23], v[60:63]// 000000007BB4: D3D7003C 1CF22D2E
	v_mfma_i32_16x16x32_i8 v[64:67], a[40:41], a[24:25], v[64:67]// 000000007BBC: D3D70040 1D023128
	buffer_load_dwordx4 a[108:111], v42, s[84:87], 0 offen offset:1024// 000000007BC4: E05C1400 80956C2A
	v_mfma_i32_16x16x32_i8 v[64:67], a[42:43], a[26:27], v[64:67]// 000000007BCC: D3D70040 1D02352A
	v_mfma_i32_16x16x32_i8 v[64:67], a[44:45], a[28:29], v[64:67]// 000000007BD4: D3D70040 1D02392C
	v_mfma_i32_16x16x32_i8 v[64:67], a[46:47], a[30:31], v[64:67]// 000000007BDC: D3D70040 1D023D2E
	s_waitcnt vmcnt(14)                                        // 000000007BE4: BF8C0F7E
	v_mfma_i32_16x16x32_i8 v[68:71], a[48:49], a[16:17], v[68:71]// 000000007BE8: D3D70044 1D122130
	buffer_load_dwordx4 a[112:115], v43, s[84:87], 0 offen     // 000000007BF0: E05C1000 8095702B
	v_mfma_i32_16x16x32_i8 v[68:71], a[50:51], a[18:19], v[68:71]// 000000007BF8: D3D70044 1D122532
	v_mfma_i32_16x16x32_i8 v[68:71], a[52:53], a[20:21], v[68:71]// 000000007C00: D3D70044 1D122934
	v_mfma_i32_16x16x32_i8 v[68:71], a[54:55], a[22:23], v[68:71]// 000000007C08: D3D70044 1D122D36
	v_mfma_i32_16x16x32_i8 v[72:75], a[48:49], a[24:25], v[72:75]// 000000007C10: D3D70048 1D223130
	buffer_load_dwordx4 a[116:119], v43, s[84:87], 0 offen offset:1024// 000000007C18: E05C1400 8095742B
	v_mfma_i32_16x16x32_i8 v[72:75], a[50:51], a[26:27], v[72:75]// 000000007C20: D3D70048 1D223532
	v_mfma_i32_16x16x32_i8 v[72:75], a[52:53], a[28:29], v[72:75]// 000000007C28: D3D70048 1D223934
	v_mfma_i32_16x16x32_i8 v[72:75], a[54:55], a[30:31], v[72:75]// 000000007C30: D3D70048 1D223D36
	s_waitcnt vmcnt(14)                                        // 000000007C38: BF8C0F7E
	v_mfma_i32_16x16x32_i8 v[76:79], a[56:57], a[16:17], v[76:79]// 000000007C3C: D3D7004C 1D322138
	buffer_load_dwordx4 a[120:123], v44, s[84:87], 0 offen     // 000000007C44: E05C1000 8095782C
	v_mfma_i32_16x16x32_i8 v[76:79], a[58:59], a[18:19], v[76:79]// 000000007C4C: D3D7004C 1D32253A
	v_mfma_i32_16x16x32_i8 v[76:79], a[60:61], a[20:21], v[76:79]// 000000007C54: D3D7004C 1D32293C
	v_mfma_i32_16x16x32_i8 v[76:79], a[62:63], a[22:23], v[76:79]// 000000007C5C: D3D7004C 1D322D3E
	v_mfma_i32_16x16x32_i8 v[80:83], a[56:57], a[24:25], v[80:83]// 000000007C64: D3D70050 1D423138
	buffer_load_dwordx4 a[124:127], v44, s[84:87], 0 offen offset:1024// 000000007C6C: E05C1400 80957C2C
	v_mfma_i32_16x16x32_i8 v[80:83], a[58:59], a[26:27], v[80:83]// 000000007C74: D3D70050 1D42353A
	v_mfma_i32_16x16x32_i8 v[80:83], a[60:61], a[28:29], v[80:83]// 000000007C7C: D3D70050 1D42393C
	v_mfma_i32_16x16x32_i8 v[80:83], a[62:63], a[30:31], v[80:83]// 000000007C84: D3D70050 1D423D3E
	s_waitcnt vmcnt(14)                                        // 000000007C8C: BF8C0F7E
	v_mfma_i32_16x16x32_i8 v[84:87], a[64:65], a[16:17], v[84:87]// 000000007C90: D3D70054 1D522140
	buffer_load_dwordx4 a[128:131], v45, s[84:87], 0 offen     // 000000007C98: E05C1000 8095802D
	v_mfma_i32_16x16x32_i8 v[84:87], a[66:67], a[18:19], v[84:87]// 000000007CA0: D3D70054 1D522542
	v_mfma_i32_16x16x32_i8 v[84:87], a[68:69], a[20:21], v[84:87]// 000000007CA8: D3D70054 1D522944
	v_mfma_i32_16x16x32_i8 v[84:87], a[70:71], a[22:23], v[84:87]// 000000007CB0: D3D70054 1D522D46
	v_mfma_i32_16x16x32_i8 v[88:91], a[64:65], a[24:25], v[88:91]// 000000007CB8: D3D70058 1D623140
	buffer_load_dwordx4 a[132:135], v45, s[84:87], 0 offen offset:1024// 000000007CC0: E05C1400 8095842D
	v_mfma_i32_16x16x32_i8 v[88:91], a[66:67], a[26:27], v[88:91]// 000000007CC8: D3D70058 1D623542
	v_mfma_i32_16x16x32_i8 v[88:91], a[68:69], a[28:29], v[88:91]// 000000007CD0: D3D70058 1D623944
	v_mfma_i32_16x16x32_i8 v[88:91], a[70:71], a[30:31], v[88:91]// 000000007CD8: D3D70058 1D623D46
	s_waitcnt vmcnt(14)                                        // 000000007CE0: BF8C0F7E
	v_mfma_i32_16x16x32_i8 v[92:95], a[72:73], a[16:17], v[92:95]// 000000007CE4: D3D7005C 1D722148
	buffer_load_dwordx4 a[136:139], v46, s[84:87], 0 offen     // 000000007CEC: E05C1000 8095882E
	v_mfma_i32_16x16x32_i8 v[92:95], a[74:75], a[18:19], v[92:95]// 000000007CF4: D3D7005C 1D72254A
	v_mfma_i32_16x16x32_i8 v[92:95], a[76:77], a[20:21], v[92:95]// 000000007CFC: D3D7005C 1D72294C
	v_mfma_i32_16x16x32_i8 v[92:95], a[78:79], a[22:23], v[92:95]// 000000007D04: D3D7005C 1D722D4E
	v_mfma_i32_16x16x32_i8 v[96:99], a[72:73], a[24:25], v[96:99]// 000000007D0C: D3D70060 1D823148
	buffer_load_dwordx4 a[140:143], v46, s[84:87], 0 offen offset:1024// 000000007D14: E05C1400 80958C2E
	v_mfma_i32_16x16x32_i8 v[96:99], a[74:75], a[26:27], v[96:99]// 000000007D1C: D3D70060 1D82354A
	v_mfma_i32_16x16x32_i8 v[96:99], a[76:77], a[28:29], v[96:99]// 000000007D24: D3D70060 1D82394C
	v_mfma_i32_16x16x32_i8 v[96:99], a[78:79], a[30:31], v[96:99]// 000000007D2C: D3D70060 1D823D4E
	s_waitcnt vmcnt(14)                                        // 000000007D34: BF8C0F7E
	v_mfma_i32_16x16x32_i8 v[100:103], a[80:81], a[16:17], v[100:103]// 000000007D38: D3D70064 1D922150
	buffer_load_dwordx4 a[144:147], v47, s[84:87], 0 offen     // 000000007D40: E05C1000 8095902F
	v_mfma_i32_16x16x32_i8 v[100:103], a[82:83], a[18:19], v[100:103]// 000000007D48: D3D70064 1D922552
	v_mfma_i32_16x16x32_i8 v[100:103], a[84:85], a[20:21], v[100:103]// 000000007D50: D3D70064 1D922954
	v_mfma_i32_16x16x32_i8 v[100:103], a[86:87], a[22:23], v[100:103]// 000000007D58: D3D70064 1D922D56
	v_mfma_i32_16x16x32_i8 v[104:107], a[80:81], a[24:25], v[104:107]// 000000007D60: D3D70068 1DA23150
	buffer_load_dwordx4 a[148:151], v47, s[84:87], 0 offen offset:1024// 000000007D68: E05C1400 8095942F
	v_mfma_i32_16x16x32_i8 v[104:107], a[82:83], a[26:27], v[104:107]// 000000007D70: D3D70068 1DA23552
	v_mfma_i32_16x16x32_i8 v[104:107], a[84:85], a[28:29], v[104:107]// 000000007D78: D3D70068 1DA23954
	v_mfma_i32_16x16x32_i8 v[104:107], a[86:87], a[30:31], v[104:107]// 000000007D80: D3D70068 1DA23D56
	s_waitcnt vmcnt(14)                                        // 000000007D88: BF8C0F7E
	v_mfma_i32_16x16x32_i8 v[108:111], a[88:89], a[16:17], v[108:111]// 000000007D8C: D3D7006C 1DB22158
	buffer_load_dwordx4 a[152:155], v48, s[84:87], 0 offen     // 000000007D94: E05C1000 80959830
	v_mfma_i32_16x16x32_i8 v[108:111], a[90:91], a[18:19], v[108:111]// 000000007D9C: D3D7006C 1DB2255A
	v_mfma_i32_16x16x32_i8 v[108:111], a[92:93], a[20:21], v[108:111]// 000000007DA4: D3D7006C 1DB2295C
	v_mfma_i32_16x16x32_i8 v[108:111], a[94:95], a[22:23], v[108:111]// 000000007DAC: D3D7006C 1DB22D5E
	v_mfma_i32_16x16x32_i8 v[112:115], a[88:89], a[24:25], v[112:115]// 000000007DB4: D3D70070 1DC23158
	buffer_load_dwordx4 a[156:159], v48, s[84:87], 0 offen offset:1024// 000000007DBC: E05C1400 80959C30
	buffer_load_dword v37, s[20:23], 0 offen lds               // 000000007DC4: E0511000 80050025
	s_add_u32 m0, 0x100, s49                                   // 000000007DCC: 807C31FF 00000100
	v_mfma_i32_16x16x32_i8 v[112:115], a[90:91], a[26:27], v[112:115]// 000000007DD4: D3D70070 1DC2355A
	s_add_u32 s60, 0x80, s80                                   // 000000007DDC: 803C50FF 00000080
	s_cmp_lt_u32 s60, s81                                      // 000000007DE4: BF0A513C
	s_cselect_b32 s83, s83, 0                                  // 000000007DE8: 85538053
	v_mfma_i32_16x16x32_i8 v[112:115], a[92:93], a[28:29], v[112:115]// 000000007DEC: D3D70070 1DC2395C
	buffer_load_dword v38, s[20:23], 0 offen lds               // 000000007DF4: E0511000 80050026
	s_add_u32 m0, 0x200, s49                                   // 000000007DFC: 807C31FF 00000200
	v_mfma_i32_16x16x32_i8 v[112:115], a[94:95], a[30:31], v[112:115]// 000000007E04: D3D70070 1DC23D5E
	buffer_load_dword v39, s[20:23], 0 offen lds               // 000000007E0C: E0511000 80050027
	s_add_u32 m0, 0x300, s49                                   // 000000007E14: 807C31FF 00000300
	buffer_load_dword v40, s[20:23], 0 offen lds               // 000000007E1C: E0511000 80050028
	s_add_u32 m0, 0, s48                                       // 000000007E24: 807C3080
	s_waitcnt vmcnt(4)                                         // 000000007E28: BF8C0F74
	v_mfma_i32_16x16x32_i8 v[116:119], a[96:97], a[16:17], v[116:119]// 000000007E2C: D3D70074 1DD22160
	buffer_load_dwordx4 a[32:35], v41, s[24:27], 0 offen       // 000000007E34: E05C1000 80862029
	v_mfma_i32_16x16x32_i8 v[116:119], a[98:99], a[18:19], v[116:119]// 000000007E3C: D3D70074 1DD22562
	v_mfma_i32_16x16x32_i8 v[116:119], a[100:101], a[20:21], v[116:119]// 000000007E44: D3D70074 1DD22964
	ds_read_b128 a[0:3], v2                                    // 000000007E4C: DBFE0000 00000002
	ds_read_b128 a[4:7], v2 offset:64                          // 000000007E54: DBFE0040 04000002
	v_mfma_i32_16x16x32_i8 v[116:119], a[102:103], a[22:23], v[116:119]// 000000007E5C: D3D70074 1DD22D66
	v_mfma_i32_16x16x32_i8 v[124:127], a[104:105], a[16:17], v[124:127]// 000000007E64: D3D7007C 1DF22168
	buffer_load_dwordx4 a[36:39], v41, s[24:27], 0 offen offset:1024// 000000007E6C: E05C1400 80862429
	v_mfma_i32_16x16x32_i8 v[124:127], a[106:107], a[18:19], v[124:127]// 000000007E74: D3D7007C 1DF2256A
	v_mfma_i32_16x16x32_i8 v[124:127], a[108:109], a[20:21], v[124:127]// 000000007E7C: D3D7007C 1DF2296C
	ds_read_b128 a[8:11], v2 offset:512                        // 000000007E84: DBFE0200 08000002
	ds_read_b128 a[12:15], v2 offset:576                       // 000000007E8C: DBFE0240 0C000002
	v_mfma_i32_16x16x32_i8 v[124:127], a[110:111], a[22:23], v[124:127]// 000000007E94: D3D7007C 1DF22D6E
	v_mfma_i32_16x16x32_i8 v[132:135], a[112:113], a[16:17], v[132:135]// 000000007E9C: D3D70084 1E122170
	buffer_load_dwordx4 a[40:43], v42, s[24:27], 0 offen       // 000000007EA4: E05C1000 8086282A
	v_mfma_i32_16x16x32_i8 v[132:135], a[114:115], a[18:19], v[132:135]// 000000007EAC: D3D70084 1E122572
	v_mfma_i32_16x16x32_i8 v[132:135], a[116:117], a[20:21], v[132:135]// 000000007EB4: D3D70084 1E122974
	v_mfma_i32_16x16x32_i8 v[132:135], a[118:119], a[22:23], v[132:135]// 000000007EBC: D3D70084 1E122D76
	v_mfma_i32_16x16x32_i8 v[140:143], a[120:121], a[16:17], v[140:143]// 000000007EC4: D3D7008C 1E322178
	buffer_load_dwordx4 a[44:47], v42, s[24:27], 0 offen offset:1024// 000000007ECC: E05C1400 80862C2A
	v_mfma_i32_16x16x32_i8 v[140:143], a[122:123], a[18:19], v[140:143]// 000000007ED4: D3D7008C 1E32257A
	v_mfma_i32_16x16x32_i8 v[140:143], a[124:125], a[20:21], v[140:143]// 000000007EDC: D3D7008C 1E32297C
	v_mfma_i32_16x16x32_i8 v[140:143], a[126:127], a[22:23], v[140:143]// 000000007EE4: D3D7008C 1E322D7E
	v_mfma_i32_16x16x32_i8 v[148:151], a[128:129], a[16:17], v[148:151]// 000000007EEC: D3D70094 1E522180
	buffer_load_dwordx4 a[48:51], v43, s[24:27], 0 offen       // 000000007EF4: E05C1000 8086302B
	v_mfma_i32_16x16x32_i8 v[148:151], a[130:131], a[18:19], v[148:151]// 000000007EFC: D3D70094 1E522582
	v_mfma_i32_16x16x32_i8 v[148:151], a[132:133], a[20:21], v[148:151]// 000000007F04: D3D70094 1E522984
	v_mfma_i32_16x16x32_i8 v[148:151], a[134:135], a[22:23], v[148:151]// 000000007F0C: D3D70094 1E522D86
	v_mfma_i32_16x16x32_i8 v[156:159], a[136:137], a[16:17], v[156:159]// 000000007F14: D3D7009C 1E722188
	buffer_load_dwordx4 a[52:55], v43, s[24:27], 0 offen offset:1024// 000000007F1C: E05C1400 8086342B
	v_mfma_i32_16x16x32_i8 v[156:159], a[138:139], a[18:19], v[156:159]// 000000007F24: D3D7009C 1E72258A
	v_mfma_i32_16x16x32_i8 v[156:159], a[140:141], a[20:21], v[156:159]// 000000007F2C: D3D7009C 1E72298C
	v_mfma_i32_16x16x32_i8 v[156:159], a[142:143], a[22:23], v[156:159]// 000000007F34: D3D7009C 1E722D8E
	v_mfma_i32_16x16x32_i8 v[164:167], a[144:145], a[16:17], v[164:167]// 000000007F3C: D3D700A4 1E922190
	buffer_load_dwordx4 a[56:59], v44, s[24:27], 0 offen       // 000000007F44: E05C1000 8086382C
	v_mfma_i32_16x16x32_i8 v[164:167], a[146:147], a[18:19], v[164:167]// 000000007F4C: D3D700A4 1E922592
	v_mfma_i32_16x16x32_i8 v[164:167], a[148:149], a[20:21], v[164:167]// 000000007F54: D3D700A4 1E922994
	v_mfma_i32_16x16x32_i8 v[164:167], a[150:151], a[22:23], v[164:167]// 000000007F5C: D3D700A4 1E922D96
	v_mfma_i32_16x16x32_i8 v[172:175], a[152:153], a[16:17], v[172:175]// 000000007F64: D3D700AC 1EB22198
	buffer_load_dwordx4 a[60:63], v44, s[24:27], 0 offen offset:1024// 000000007F6C: E05C1400 80863C2C
	v_mfma_i32_16x16x32_i8 v[172:175], a[154:155], a[18:19], v[172:175]// 000000007F74: D3D700AC 1EB2259A
	v_mfma_i32_16x16x32_i8 v[172:175], a[156:157], a[20:21], v[172:175]// 000000007F7C: D3D700AC 1EB2299C
	v_mfma_i32_16x16x32_i8 v[172:175], a[158:159], a[22:23], v[172:175]// 000000007F84: D3D700AC 1EB22D9E
	v_mfma_i32_16x16x32_i8 v[120:123], a[96:97], a[24:25], v[120:123]// 000000007F8C: D3D70078 1DE23160
	buffer_load_dwordx4 a[64:67], v45, s[24:27], 0 offen       // 000000007F94: E05C1000 8086402D
	v_mfma_i32_16x16x32_i8 v[120:123], a[98:99], a[26:27], v[120:123]// 000000007F9C: D3D70078 1DE23562
	v_mfma_i32_16x16x32_i8 v[120:123], a[100:101], a[28:29], v[120:123]// 000000007FA4: D3D70078 1DE23964
	v_mfma_i32_16x16x32_i8 v[120:123], a[102:103], a[30:31], v[120:123]// 000000007FAC: D3D70078 1DE23D66
	v_mfma_i32_16x16x32_i8 v[128:131], a[104:105], a[24:25], v[128:131]// 000000007FB4: D3D70080 1E023168
	buffer_load_dwordx4 a[68:71], v45, s[24:27], 0 offen offset:1024// 000000007FBC: E05C1400 8086442D
	v_mfma_i32_16x16x32_i8 v[128:131], a[106:107], a[26:27], v[128:131]// 000000007FC4: D3D70080 1E02356A
	v_mfma_i32_16x16x32_i8 v[128:131], a[108:109], a[28:29], v[128:131]// 000000007FCC: D3D70080 1E02396C
	v_mfma_i32_16x16x32_i8 v[128:131], a[110:111], a[30:31], v[128:131]// 000000007FD4: D3D70080 1E023D6E
	v_mfma_i32_16x16x32_i8 v[136:139], a[112:113], a[24:25], v[136:139]// 000000007FDC: D3D70088 1E223170
	buffer_load_dwordx4 a[72:75], v46, s[24:27], 0 offen       // 000000007FE4: E05C1000 8086482E
	v_mfma_i32_16x16x32_i8 v[136:139], a[114:115], a[26:27], v[136:139]// 000000007FEC: D3D70088 1E223572
	v_mfma_i32_16x16x32_i8 v[136:139], a[116:117], a[28:29], v[136:139]// 000000007FF4: D3D70088 1E223974
	v_mfma_i32_16x16x32_i8 v[136:139], a[118:119], a[30:31], v[136:139]// 000000007FFC: D3D70088 1E223D76
	v_mfma_i32_16x16x32_i8 v[144:147], a[120:121], a[24:25], v[144:147]// 000000008004: D3D70090 1E423178
	buffer_load_dwordx4 a[76:79], v46, s[24:27], 0 offen offset:1024// 00000000800C: E05C1400 80864C2E
	v_mfma_i32_16x16x32_i8 v[144:147], a[122:123], a[26:27], v[144:147]// 000000008014: D3D70090 1E42357A
	v_mfma_i32_16x16x32_i8 v[144:147], a[124:125], a[28:29], v[144:147]// 00000000801C: D3D70090 1E42397C
	v_mfma_i32_16x16x32_i8 v[144:147], a[126:127], a[30:31], v[144:147]// 000000008024: D3D70090 1E423D7E
	v_mfma_i32_16x16x32_i8 v[152:155], a[128:129], a[24:25], v[152:155]// 00000000802C: D3D70098 1E623180
	buffer_load_dwordx4 a[80:83], v47, s[24:27], 0 offen       // 000000008034: E05C1000 8086502F
	v_mfma_i32_16x16x32_i8 v[152:155], a[130:131], a[26:27], v[152:155]// 00000000803C: D3D70098 1E623582
	v_mfma_i32_16x16x32_i8 v[152:155], a[132:133], a[28:29], v[152:155]// 000000008044: D3D70098 1E623984
	v_mfma_i32_16x16x32_i8 v[152:155], a[134:135], a[30:31], v[152:155]// 00000000804C: D3D70098 1E623D86
	v_mfma_i32_16x16x32_i8 v[160:163], a[136:137], a[24:25], v[160:163]// 000000008054: D3D700A0 1E823188
	buffer_load_dwordx4 a[84:87], v47, s[24:27], 0 offen offset:1024// 00000000805C: E05C1400 8086542F
	v_mfma_i32_16x16x32_i8 v[160:163], a[138:139], a[26:27], v[160:163]// 000000008064: D3D700A0 1E82358A
	v_mfma_i32_16x16x32_i8 v[160:163], a[140:141], a[28:29], v[160:163]// 00000000806C: D3D700A0 1E82398C
	v_mfma_i32_16x16x32_i8 v[160:163], a[142:143], a[30:31], v[160:163]// 000000008074: D3D700A0 1E823D8E
	v_mfma_i32_16x16x32_i8 v[168:171], a[144:145], a[24:25], v[168:171]// 00000000807C: D3D700A8 1EA23190
	buffer_load_dwordx4 a[88:91], v48, s[24:27], 0 offen       // 000000008084: E05C1000 80865830
	v_mfma_i32_16x16x32_i8 v[168:171], a[146:147], a[26:27], v[168:171]// 00000000808C: D3D700A8 1EA23592
	v_mfma_i32_16x16x32_i8 v[168:171], a[148:149], a[28:29], v[168:171]// 000000008094: D3D700A8 1EA23994
	s_add_u32 s60, 0x180, s80                                  // 00000000809C: 803C50FF 00000180
	s_cmp_lt_u32 s60, s81                                      // 0000000080A4: BF0A513C
	s_cselect_b32 s57, s57, 0                                  // 0000000080A8: 85398039
	v_mfma_i32_16x16x32_i8 v[168:171], a[150:151], a[30:31], v[168:171]// 0000000080AC: D3D700A8 1EA23D96
	s_add_u32 s60, 0x100, s80                                  // 0000000080B4: 803C50FF 00000100
	s_cmp_lt_u32 s60, s81                                      // 0000000080BC: BF0A513C
	s_cselect_b32 s58, s58, 0                                  // 0000000080C0: 853A803A
	v_mfma_i32_16x16x32_i8 v[176:179], a[152:153], a[24:25], v[176:179]// 0000000080C4: D3D700B0 1EC23198
	buffer_load_dwordx4 a[92:95], v48, s[24:27], 0 offen offset:1024// 0000000080CC: E05C1400 80865C30
	s_add_u32 s24, s58, s24                                    // 0000000080D4: 8018183A
	s_addc_u32 s25, 0, s25                                     // 0000000080D8: 82191980
	v_mfma_i32_16x16x32_i8 v[176:179], a[154:155], a[26:27], v[176:179]// 0000000080DC: D3D700B0 1EC2359A
	s_add_u32 s20, s57, s20                                    // 0000000080E4: 80141439
	s_addc_u32 s21, 0, s21                                     // 0000000080E8: 82151580
	v_mfma_i32_16x16x32_i8 v[176:179], a[156:157], a[28:29], v[176:179]// 0000000080EC: D3D700B0 1EC2399C
	s_add_u32 s84, s83, s84                                    // 0000000080F4: 80545453
	s_addc_u32 s85, 0, s85                                     // 0000000080F8: 82555580
	v_mfma_i32_16x16x32_i8 v[176:179], a[158:159], a[30:31], v[176:179]// 0000000080FC: D3D700B0 1EC23D9E
	s_addk_i32 s80, 0x80                                       // 000000008104: B7500080
	s_cmp_lt_i32 s80, s81                                      // 000000008108: BF045150
	s_cbranch_scc0 label_15C8                                  // 00000000810C: BF840001
	s_branch label_12DB                                        // 000000008110: BF82FD13

0000000000008114 <label_15C8>:
	v_cvt_f32_i32_e32 v52, v52                                 // 000000008114: 7E680B34
	v_cvt_f32_i32_e32 v53, v53                                 // 000000008118: 7E6A0B35
	v_cvt_f32_i32_e32 v54, v54                                 // 00000000811C: 7E6C0B36
	v_cvt_f32_i32_e32 v55, v55                                 // 000000008120: 7E6E0B37
	v_mul_f32_dpp v52, v25, v52 row_newbcast:0 row_mask:0xf bank_mask:0xf// 000000008124: 0A6868FA FF015019
	v_mul_f32_dpp v53, v25, v53 row_newbcast:1 row_mask:0xf bank_mask:0xf// 00000000812C: 0A6A6AFA FF015119
	v_mul_f32_dpp v54, v25, v54 row_newbcast:2 row_mask:0xf bank_mask:0xf// 000000008134: 0A6C6CFA FF015219
	v_mul_f32_dpp v55, v25, v55 row_newbcast:3 row_mask:0xf bank_mask:0xf// 00000000813C: 0A6E6EFA FF015319
	v_cvt_f32_i32_e32 v56, v56                                 // 000000008144: 7E700B38
	v_cvt_f32_i32_e32 v57, v57                                 // 000000008148: 7E720B39
	v_cvt_f32_i32_e32 v58, v58                                 // 00000000814C: 7E740B3A
	v_cvt_f32_i32_e32 v59, v59                                 // 000000008150: 7E760B3B
	v_mul_f32_dpp v56, v25, v56 row_newbcast:0 row_mask:0xf bank_mask:0xf// 000000008154: 0A7070FA FF015019
	v_mul_f32_dpp v57, v25, v57 row_newbcast:1 row_mask:0xf bank_mask:0xf// 00000000815C: 0A7272FA FF015119
	v_mul_f32_dpp v58, v25, v58 row_newbcast:2 row_mask:0xf bank_mask:0xf// 000000008164: 0A7474FA FF015219
	v_mul_f32_dpp v59, v25, v59 row_newbcast:3 row_mask:0xf bank_mask:0xf// 00000000816C: 0A7676FA FF015319
	v_cvt_f32_i32_e32 v60, v60                                 // 000000008174: 7E780B3C
	v_cvt_f32_i32_e32 v61, v61                                 // 000000008178: 7E7A0B3D
	v_cvt_f32_i32_e32 v62, v62                                 // 00000000817C: 7E7C0B3E
	v_cvt_f32_i32_e32 v63, v63                                 // 000000008180: 7E7E0B3F
	v_mul_f32_dpp v60, v25, v60 row_newbcast:4 row_mask:0xf bank_mask:0xf// 000000008184: 0A7878FA FF015419
	v_mul_f32_dpp v61, v25, v61 row_newbcast:5 row_mask:0xf bank_mask:0xf// 00000000818C: 0A7A7AFA FF015519
	v_mul_f32_dpp v62, v25, v62 row_newbcast:6 row_mask:0xf bank_mask:0xf// 000000008194: 0A7C7CFA FF015619
	v_mul_f32_dpp v63, v25, v63 row_newbcast:7 row_mask:0xf bank_mask:0xf// 00000000819C: 0A7E7EFA FF015719
	v_cvt_f32_i32_e32 v64, v64                                 // 0000000081A4: 7E800B40
	v_cvt_f32_i32_e32 v65, v65                                 // 0000000081A8: 7E820B41
	v_cvt_f32_i32_e32 v66, v66                                 // 0000000081AC: 7E840B42
	v_cvt_f32_i32_e32 v67, v67                                 // 0000000081B0: 7E860B43
	v_mul_f32_dpp v64, v25, v64 row_newbcast:4 row_mask:0xf bank_mask:0xf// 0000000081B4: 0A8080FA FF015419
	v_mul_f32_dpp v65, v25, v65 row_newbcast:5 row_mask:0xf bank_mask:0xf// 0000000081BC: 0A8282FA FF015519
	v_mul_f32_dpp v66, v25, v66 row_newbcast:6 row_mask:0xf bank_mask:0xf// 0000000081C4: 0A8484FA FF015619
	v_mul_f32_dpp v67, v25, v67 row_newbcast:7 row_mask:0xf bank_mask:0xf// 0000000081CC: 0A8686FA FF015719
	v_cvt_f32_i32_e32 v68, v68                                 // 0000000081D4: 7E880B44
	v_cvt_f32_i32_e32 v69, v69                                 // 0000000081D8: 7E8A0B45
	v_cvt_f32_i32_e32 v70, v70                                 // 0000000081DC: 7E8C0B46
	v_cvt_f32_i32_e32 v71, v71                                 // 0000000081E0: 7E8E0B47
	v_mul_f32_dpp v68, v25, v68 row_newbcast:8 row_mask:0xf bank_mask:0xf// 0000000081E4: 0A8888FA FF015819
	v_mul_f32_dpp v69, v25, v69 row_newbcast:9 row_mask:0xf bank_mask:0xf// 0000000081EC: 0A8A8AFA FF015919
	v_mul_f32_dpp v70, v25, v70 row_newbcast:10 row_mask:0xf bank_mask:0xf// 0000000081F4: 0A8C8CFA FF015A19
	v_mul_f32_dpp v71, v25, v71 row_newbcast:11 row_mask:0xf bank_mask:0xf// 0000000081FC: 0A8E8EFA FF015B19
	v_cvt_f32_i32_e32 v72, v72                                 // 000000008204: 7E900B48
	v_cvt_f32_i32_e32 v73, v73                                 // 000000008208: 7E920B49
	v_cvt_f32_i32_e32 v74, v74                                 // 00000000820C: 7E940B4A
	v_cvt_f32_i32_e32 v75, v75                                 // 000000008210: 7E960B4B
	v_mul_f32_dpp v72, v25, v72 row_newbcast:8 row_mask:0xf bank_mask:0xf// 000000008214: 0A9090FA FF015819
	v_mul_f32_dpp v73, v25, v73 row_newbcast:9 row_mask:0xf bank_mask:0xf// 00000000821C: 0A9292FA FF015919
	v_mul_f32_dpp v74, v25, v74 row_newbcast:10 row_mask:0xf bank_mask:0xf// 000000008224: 0A9494FA FF015A19
	v_mul_f32_dpp v75, v25, v75 row_newbcast:11 row_mask:0xf bank_mask:0xf// 00000000822C: 0A9696FA FF015B19
	v_cvt_f32_i32_e32 v76, v76                                 // 000000008234: 7E980B4C
	v_cvt_f32_i32_e32 v77, v77                                 // 000000008238: 7E9A0B4D
	v_cvt_f32_i32_e32 v78, v78                                 // 00000000823C: 7E9C0B4E
	v_cvt_f32_i32_e32 v79, v79                                 // 000000008240: 7E9E0B4F
	v_mul_f32_dpp v76, v25, v76 row_newbcast:12 row_mask:0xf bank_mask:0xf// 000000008244: 0A9898FA FF015C19
	v_mul_f32_dpp v77, v25, v77 row_newbcast:13 row_mask:0xf bank_mask:0xf// 00000000824C: 0A9A9AFA FF015D19
	v_mul_f32_dpp v78, v25, v78 row_newbcast:14 row_mask:0xf bank_mask:0xf// 000000008254: 0A9C9CFA FF015E19
	v_mul_f32_dpp v79, v25, v79 row_newbcast:15 row_mask:0xf bank_mask:0xf// 00000000825C: 0A9E9EFA FF015F19
	v_cvt_f32_i32_e32 v80, v80                                 // 000000008264: 7EA00B50
	v_cvt_f32_i32_e32 v81, v81                                 // 000000008268: 7EA20B51
	v_cvt_f32_i32_e32 v82, v82                                 // 00000000826C: 7EA40B52
	v_cvt_f32_i32_e32 v83, v83                                 // 000000008270: 7EA60B53
	v_mul_f32_dpp v80, v25, v80 row_newbcast:12 row_mask:0xf bank_mask:0xf// 000000008274: 0AA0A0FA FF015C19
	v_mul_f32_dpp v81, v25, v81 row_newbcast:13 row_mask:0xf bank_mask:0xf// 00000000827C: 0AA2A2FA FF015D19
	v_mul_f32_dpp v82, v25, v82 row_newbcast:14 row_mask:0xf bank_mask:0xf// 000000008284: 0AA4A4FA FF015E19
	v_mul_f32_dpp v83, v25, v83 row_newbcast:15 row_mask:0xf bank_mask:0xf// 00000000828C: 0AA6A6FA FF015F19
	v_cvt_f32_i32_e32 v84, v84                                 // 000000008294: 7EA80B54
	v_cvt_f32_i32_e32 v85, v85                                 // 000000008298: 7EAA0B55
	v_cvt_f32_i32_e32 v86, v86                                 // 00000000829C: 7EAC0B56
	v_cvt_f32_i32_e32 v87, v87                                 // 0000000082A0: 7EAE0B57
	v_mul_f32_dpp v84, v26, v84 row_newbcast:0 row_mask:0xf bank_mask:0xf// 0000000082A4: 0AA8A8FA FF01501A
	v_mul_f32_dpp v85, v26, v85 row_newbcast:1 row_mask:0xf bank_mask:0xf// 0000000082AC: 0AAAAAFA FF01511A
	v_mul_f32_dpp v86, v26, v86 row_newbcast:2 row_mask:0xf bank_mask:0xf// 0000000082B4: 0AACACFA FF01521A
	v_mul_f32_dpp v87, v26, v87 row_newbcast:3 row_mask:0xf bank_mask:0xf// 0000000082BC: 0AAEAEFA FF01531A
	v_cvt_f32_i32_e32 v88, v88                                 // 0000000082C4: 7EB00B58
	v_cvt_f32_i32_e32 v89, v89                                 // 0000000082C8: 7EB20B59
	v_cvt_f32_i32_e32 v90, v90                                 // 0000000082CC: 7EB40B5A
	v_cvt_f32_i32_e32 v91, v91                                 // 0000000082D0: 7EB60B5B
	v_mul_f32_dpp v88, v26, v88 row_newbcast:0 row_mask:0xf bank_mask:0xf// 0000000082D4: 0AB0B0FA FF01501A
	v_mul_f32_dpp v89, v26, v89 row_newbcast:1 row_mask:0xf bank_mask:0xf// 0000000082DC: 0AB2B2FA FF01511A
	v_mul_f32_dpp v90, v26, v90 row_newbcast:2 row_mask:0xf bank_mask:0xf// 0000000082E4: 0AB4B4FA FF01521A
	v_mul_f32_dpp v91, v26, v91 row_newbcast:3 row_mask:0xf bank_mask:0xf// 0000000082EC: 0AB6B6FA FF01531A
	v_cvt_f32_i32_e32 v92, v92                                 // 0000000082F4: 7EB80B5C
	v_cvt_f32_i32_e32 v93, v93                                 // 0000000082F8: 7EBA0B5D
	v_cvt_f32_i32_e32 v94, v94                                 // 0000000082FC: 7EBC0B5E
	v_cvt_f32_i32_e32 v95, v95                                 // 000000008300: 7EBE0B5F
	v_mul_f32_dpp v92, v26, v92 row_newbcast:4 row_mask:0xf bank_mask:0xf// 000000008304: 0AB8B8FA FF01541A
	v_mul_f32_dpp v93, v26, v93 row_newbcast:5 row_mask:0xf bank_mask:0xf// 00000000830C: 0ABABAFA FF01551A
	v_mul_f32_dpp v94, v26, v94 row_newbcast:6 row_mask:0xf bank_mask:0xf// 000000008314: 0ABCBCFA FF01561A
	v_mul_f32_dpp v95, v26, v95 row_newbcast:7 row_mask:0xf bank_mask:0xf// 00000000831C: 0ABEBEFA FF01571A
	v_cvt_f32_i32_e32 v96, v96                                 // 000000008324: 7EC00B60
	v_cvt_f32_i32_e32 v97, v97                                 // 000000008328: 7EC20B61
	v_cvt_f32_i32_e32 v98, v98                                 // 00000000832C: 7EC40B62
	v_cvt_f32_i32_e32 v99, v99                                 // 000000008330: 7EC60B63
	v_mul_f32_dpp v96, v26, v96 row_newbcast:4 row_mask:0xf bank_mask:0xf// 000000008334: 0AC0C0FA FF01541A
	v_mul_f32_dpp v97, v26, v97 row_newbcast:5 row_mask:0xf bank_mask:0xf// 00000000833C: 0AC2C2FA FF01551A
	v_mul_f32_dpp v98, v26, v98 row_newbcast:6 row_mask:0xf bank_mask:0xf// 000000008344: 0AC4C4FA FF01561A
	v_mul_f32_dpp v99, v26, v99 row_newbcast:7 row_mask:0xf bank_mask:0xf// 00000000834C: 0AC6C6FA FF01571A
	v_cvt_f32_i32_e32 v100, v100                               // 000000008354: 7EC80B64
	v_cvt_f32_i32_e32 v101, v101                               // 000000008358: 7ECA0B65
	v_cvt_f32_i32_e32 v102, v102                               // 00000000835C: 7ECC0B66
	v_cvt_f32_i32_e32 v103, v103                               // 000000008360: 7ECE0B67
	v_mul_f32_dpp v100, v26, v100 row_newbcast:8 row_mask:0xf bank_mask:0xf// 000000008364: 0AC8C8FA FF01581A
	v_mul_f32_dpp v101, v26, v101 row_newbcast:9 row_mask:0xf bank_mask:0xf// 00000000836C: 0ACACAFA FF01591A
	v_mul_f32_dpp v102, v26, v102 row_newbcast:10 row_mask:0xf bank_mask:0xf// 000000008374: 0ACCCCFA FF015A1A
	v_mul_f32_dpp v103, v26, v103 row_newbcast:11 row_mask:0xf bank_mask:0xf// 00000000837C: 0ACECEFA FF015B1A
	v_cvt_f32_i32_e32 v104, v104                               // 000000008384: 7ED00B68
	v_cvt_f32_i32_e32 v105, v105                               // 000000008388: 7ED20B69
	v_cvt_f32_i32_e32 v106, v106                               // 00000000838C: 7ED40B6A
	v_cvt_f32_i32_e32 v107, v107                               // 000000008390: 7ED60B6B
	v_mul_f32_dpp v104, v26, v104 row_newbcast:8 row_mask:0xf bank_mask:0xf// 000000008394: 0AD0D0FA FF01581A
	v_mul_f32_dpp v105, v26, v105 row_newbcast:9 row_mask:0xf bank_mask:0xf// 00000000839C: 0AD2D2FA FF01591A
	v_mul_f32_dpp v106, v26, v106 row_newbcast:10 row_mask:0xf bank_mask:0xf// 0000000083A4: 0AD4D4FA FF015A1A
	v_mul_f32_dpp v107, v26, v107 row_newbcast:11 row_mask:0xf bank_mask:0xf// 0000000083AC: 0AD6D6FA FF015B1A
	v_cvt_f32_i32_e32 v108, v108                               // 0000000083B4: 7ED80B6C
	v_cvt_f32_i32_e32 v109, v109                               // 0000000083B8: 7EDA0B6D
	v_cvt_f32_i32_e32 v110, v110                               // 0000000083BC: 7EDC0B6E
	v_cvt_f32_i32_e32 v111, v111                               // 0000000083C0: 7EDE0B6F
	v_mul_f32_dpp v108, v26, v108 row_newbcast:12 row_mask:0xf bank_mask:0xf// 0000000083C4: 0AD8D8FA FF015C1A
	v_mul_f32_dpp v109, v26, v109 row_newbcast:13 row_mask:0xf bank_mask:0xf// 0000000083CC: 0ADADAFA FF015D1A
	v_mul_f32_dpp v110, v26, v110 row_newbcast:14 row_mask:0xf bank_mask:0xf// 0000000083D4: 0ADCDCFA FF015E1A
	v_mul_f32_dpp v111, v26, v111 row_newbcast:15 row_mask:0xf bank_mask:0xf// 0000000083DC: 0ADEDEFA FF015F1A
	v_cvt_f32_i32_e32 v112, v112                               // 0000000083E4: 7EE00B70
	v_cvt_f32_i32_e32 v113, v113                               // 0000000083E8: 7EE20B71
	v_cvt_f32_i32_e32 v114, v114                               // 0000000083EC: 7EE40B72
	v_cvt_f32_i32_e32 v115, v115                               // 0000000083F0: 7EE60B73
	v_mul_f32_dpp v112, v26, v112 row_newbcast:12 row_mask:0xf bank_mask:0xf// 0000000083F4: 0AE0E0FA FF015C1A
	v_mul_f32_dpp v113, v26, v113 row_newbcast:13 row_mask:0xf bank_mask:0xf// 0000000083FC: 0AE2E2FA FF015D1A
	v_mul_f32_dpp v114, v26, v114 row_newbcast:14 row_mask:0xf bank_mask:0xf// 000000008404: 0AE4E4FA FF015E1A
	v_mul_f32_dpp v115, v26, v115 row_newbcast:15 row_mask:0xf bank_mask:0xf// 00000000840C: 0AE6E6FA FF015F1A
	v_cvt_f32_i32_e32 v116, v116                               // 000000008414: 7EE80B74
	v_cvt_f32_i32_e32 v117, v117                               // 000000008418: 7EEA0B75
	v_cvt_f32_i32_e32 v118, v118                               // 00000000841C: 7EEC0B76
	v_cvt_f32_i32_e32 v119, v119                               // 000000008420: 7EEE0B77
	v_mul_f32_dpp v116, v27, v116 row_newbcast:0 row_mask:0xf bank_mask:0xf// 000000008424: 0AE8E8FA FF01501B
	v_mul_f32_dpp v117, v27, v117 row_newbcast:1 row_mask:0xf bank_mask:0xf// 00000000842C: 0AEAEAFA FF01511B
	v_mul_f32_dpp v118, v27, v118 row_newbcast:2 row_mask:0xf bank_mask:0xf// 000000008434: 0AECECFA FF01521B
	v_mul_f32_dpp v119, v27, v119 row_newbcast:3 row_mask:0xf bank_mask:0xf// 00000000843C: 0AEEEEFA FF01531B
	v_cvt_f32_i32_e32 v120, v120                               // 000000008444: 7EF00B78
	v_cvt_f32_i32_e32 v121, v121                               // 000000008448: 7EF20B79
	v_cvt_f32_i32_e32 v122, v122                               // 00000000844C: 7EF40B7A
	v_cvt_f32_i32_e32 v123, v123                               // 000000008450: 7EF60B7B
	v_mul_f32_dpp v120, v27, v120 row_newbcast:0 row_mask:0xf bank_mask:0xf// 000000008454: 0AF0F0FA FF01501B
	v_mul_f32_dpp v121, v27, v121 row_newbcast:1 row_mask:0xf bank_mask:0xf// 00000000845C: 0AF2F2FA FF01511B
	v_mul_f32_dpp v122, v27, v122 row_newbcast:2 row_mask:0xf bank_mask:0xf// 000000008464: 0AF4F4FA FF01521B
	v_mul_f32_dpp v123, v27, v123 row_newbcast:3 row_mask:0xf bank_mask:0xf// 00000000846C: 0AF6F6FA FF01531B
	v_cvt_f32_i32_e32 v124, v124                               // 000000008474: 7EF80B7C
	v_cvt_f32_i32_e32 v125, v125                               // 000000008478: 7EFA0B7D
	v_cvt_f32_i32_e32 v126, v126                               // 00000000847C: 7EFC0B7E
	v_cvt_f32_i32_e32 v127, v127                               // 000000008480: 7EFE0B7F
	v_mul_f32_dpp v124, v27, v124 row_newbcast:4 row_mask:0xf bank_mask:0xf// 000000008484: 0AF8F8FA FF01541B
	v_mul_f32_dpp v125, v27, v125 row_newbcast:5 row_mask:0xf bank_mask:0xf// 00000000848C: 0AFAFAFA FF01551B
	v_mul_f32_dpp v126, v27, v126 row_newbcast:6 row_mask:0xf bank_mask:0xf// 000000008494: 0AFCFCFA FF01561B
	v_mul_f32_dpp v127, v27, v127 row_newbcast:7 row_mask:0xf bank_mask:0xf// 00000000849C: 0AFEFEFA FF01571B
	v_cvt_f32_i32_e32 v128, v128                               // 0000000084A4: 7F000B80
	v_cvt_f32_i32_e32 v129, v129                               // 0000000084A8: 7F020B81
	v_cvt_f32_i32_e32 v130, v130                               // 0000000084AC: 7F040B82
	v_cvt_f32_i32_e32 v131, v131                               // 0000000084B0: 7F060B83
	v_mul_f32_dpp v128, v27, v128 row_newbcast:4 row_mask:0xf bank_mask:0xf// 0000000084B4: 0B0100FA FF01541B
	v_mul_f32_dpp v129, v27, v129 row_newbcast:5 row_mask:0xf bank_mask:0xf// 0000000084BC: 0B0302FA FF01551B
	v_mul_f32_dpp v130, v27, v130 row_newbcast:6 row_mask:0xf bank_mask:0xf// 0000000084C4: 0B0504FA FF01561B
	v_mul_f32_dpp v131, v27, v131 row_newbcast:7 row_mask:0xf bank_mask:0xf// 0000000084CC: 0B0706FA FF01571B
	v_cvt_f32_i32_e32 v132, v132                               // 0000000084D4: 7F080B84
	v_cvt_f32_i32_e32 v133, v133                               // 0000000084D8: 7F0A0B85
	v_cvt_f32_i32_e32 v134, v134                               // 0000000084DC: 7F0C0B86
	v_cvt_f32_i32_e32 v135, v135                               // 0000000084E0: 7F0E0B87
	v_mul_f32_dpp v132, v27, v132 row_newbcast:8 row_mask:0xf bank_mask:0xf// 0000000084E4: 0B0908FA FF01581B
	v_mul_f32_dpp v133, v27, v133 row_newbcast:9 row_mask:0xf bank_mask:0xf// 0000000084EC: 0B0B0AFA FF01591B
	v_mul_f32_dpp v134, v27, v134 row_newbcast:10 row_mask:0xf bank_mask:0xf// 0000000084F4: 0B0D0CFA FF015A1B
	v_mul_f32_dpp v135, v27, v135 row_newbcast:11 row_mask:0xf bank_mask:0xf// 0000000084FC: 0B0F0EFA FF015B1B
	v_cvt_f32_i32_e32 v136, v136                               // 000000008504: 7F100B88
	v_cvt_f32_i32_e32 v137, v137                               // 000000008508: 7F120B89
	v_cvt_f32_i32_e32 v138, v138                               // 00000000850C: 7F140B8A
	v_cvt_f32_i32_e32 v139, v139                               // 000000008510: 7F160B8B
	v_mul_f32_dpp v136, v27, v136 row_newbcast:8 row_mask:0xf bank_mask:0xf// 000000008514: 0B1110FA FF01581B
	v_mul_f32_dpp v137, v27, v137 row_newbcast:9 row_mask:0xf bank_mask:0xf// 00000000851C: 0B1312FA FF01591B
	v_mul_f32_dpp v138, v27, v138 row_newbcast:10 row_mask:0xf bank_mask:0xf// 000000008524: 0B1514FA FF015A1B
	v_mul_f32_dpp v139, v27, v139 row_newbcast:11 row_mask:0xf bank_mask:0xf// 00000000852C: 0B1716FA FF015B1B
	v_cvt_f32_i32_e32 v140, v140                               // 000000008534: 7F180B8C
	v_cvt_f32_i32_e32 v141, v141                               // 000000008538: 7F1A0B8D
	v_cvt_f32_i32_e32 v142, v142                               // 00000000853C: 7F1C0B8E
	v_cvt_f32_i32_e32 v143, v143                               // 000000008540: 7F1E0B8F
	v_mul_f32_dpp v140, v27, v140 row_newbcast:12 row_mask:0xf bank_mask:0xf// 000000008544: 0B1918FA FF015C1B
	v_mul_f32_dpp v141, v27, v141 row_newbcast:13 row_mask:0xf bank_mask:0xf// 00000000854C: 0B1B1AFA FF015D1B
	v_mul_f32_dpp v142, v27, v142 row_newbcast:14 row_mask:0xf bank_mask:0xf// 000000008554: 0B1D1CFA FF015E1B
	v_mul_f32_dpp v143, v27, v143 row_newbcast:15 row_mask:0xf bank_mask:0xf// 00000000855C: 0B1F1EFA FF015F1B
	v_cvt_f32_i32_e32 v144, v144                               // 000000008564: 7F200B90
	v_cvt_f32_i32_e32 v145, v145                               // 000000008568: 7F220B91
	v_cvt_f32_i32_e32 v146, v146                               // 00000000856C: 7F240B92
	v_cvt_f32_i32_e32 v147, v147                               // 000000008570: 7F260B93
	v_mul_f32_dpp v144, v27, v144 row_newbcast:12 row_mask:0xf bank_mask:0xf// 000000008574: 0B2120FA FF015C1B
	v_mul_f32_dpp v145, v27, v145 row_newbcast:13 row_mask:0xf bank_mask:0xf// 00000000857C: 0B2322FA FF015D1B
	v_mul_f32_dpp v146, v27, v146 row_newbcast:14 row_mask:0xf bank_mask:0xf// 000000008584: 0B2524FA FF015E1B
	v_mul_f32_dpp v147, v27, v147 row_newbcast:15 row_mask:0xf bank_mask:0xf// 00000000858C: 0B2726FA FF015F1B
	v_cvt_f32_i32_e32 v148, v148                               // 000000008594: 7F280B94
	v_cvt_f32_i32_e32 v149, v149                               // 000000008598: 7F2A0B95
	v_cvt_f32_i32_e32 v150, v150                               // 00000000859C: 7F2C0B96
	v_cvt_f32_i32_e32 v151, v151                               // 0000000085A0: 7F2E0B97
	v_mul_f32_dpp v148, v28, v148 row_newbcast:0 row_mask:0xf bank_mask:0xf// 0000000085A4: 0B2928FA FF01501C
	v_mul_f32_dpp v149, v28, v149 row_newbcast:1 row_mask:0xf bank_mask:0xf// 0000000085AC: 0B2B2AFA FF01511C
	v_mul_f32_dpp v150, v28, v150 row_newbcast:2 row_mask:0xf bank_mask:0xf// 0000000085B4: 0B2D2CFA FF01521C
	v_mul_f32_dpp v151, v28, v151 row_newbcast:3 row_mask:0xf bank_mask:0xf// 0000000085BC: 0B2F2EFA FF01531C
	v_cvt_f32_i32_e32 v152, v152                               // 0000000085C4: 7F300B98
	v_cvt_f32_i32_e32 v153, v153                               // 0000000085C8: 7F320B99
	v_cvt_f32_i32_e32 v154, v154                               // 0000000085CC: 7F340B9A
	v_cvt_f32_i32_e32 v155, v155                               // 0000000085D0: 7F360B9B
	v_mul_f32_dpp v152, v28, v152 row_newbcast:0 row_mask:0xf bank_mask:0xf// 0000000085D4: 0B3130FA FF01501C
	v_mul_f32_dpp v153, v28, v153 row_newbcast:1 row_mask:0xf bank_mask:0xf// 0000000085DC: 0B3332FA FF01511C
	v_mul_f32_dpp v154, v28, v154 row_newbcast:2 row_mask:0xf bank_mask:0xf// 0000000085E4: 0B3534FA FF01521C
	v_mul_f32_dpp v155, v28, v155 row_newbcast:3 row_mask:0xf bank_mask:0xf// 0000000085EC: 0B3736FA FF01531C
	v_cvt_f32_i32_e32 v156, v156                               // 0000000085F4: 7F380B9C
	v_cvt_f32_i32_e32 v157, v157                               // 0000000085F8: 7F3A0B9D
	v_cvt_f32_i32_e32 v158, v158                               // 0000000085FC: 7F3C0B9E
	v_cvt_f32_i32_e32 v159, v159                               // 000000008600: 7F3E0B9F
	v_mul_f32_dpp v156, v28, v156 row_newbcast:4 row_mask:0xf bank_mask:0xf// 000000008604: 0B3938FA FF01541C
	v_mul_f32_dpp v157, v28, v157 row_newbcast:5 row_mask:0xf bank_mask:0xf// 00000000860C: 0B3B3AFA FF01551C
	v_mul_f32_dpp v158, v28, v158 row_newbcast:6 row_mask:0xf bank_mask:0xf// 000000008614: 0B3D3CFA FF01561C
	v_mul_f32_dpp v159, v28, v159 row_newbcast:7 row_mask:0xf bank_mask:0xf// 00000000861C: 0B3F3EFA FF01571C
	v_cvt_f32_i32_e32 v160, v160                               // 000000008624: 7F400BA0
	v_cvt_f32_i32_e32 v161, v161                               // 000000008628: 7F420BA1
	v_cvt_f32_i32_e32 v162, v162                               // 00000000862C: 7F440BA2
	v_cvt_f32_i32_e32 v163, v163                               // 000000008630: 7F460BA3
	v_mul_f32_dpp v160, v28, v160 row_newbcast:4 row_mask:0xf bank_mask:0xf// 000000008634: 0B4140FA FF01541C
	v_mul_f32_dpp v161, v28, v161 row_newbcast:5 row_mask:0xf bank_mask:0xf// 00000000863C: 0B4342FA FF01551C
	v_mul_f32_dpp v162, v28, v162 row_newbcast:6 row_mask:0xf bank_mask:0xf// 000000008644: 0B4544FA FF01561C
	v_mul_f32_dpp v163, v28, v163 row_newbcast:7 row_mask:0xf bank_mask:0xf// 00000000864C: 0B4746FA FF01571C
	v_cvt_f32_i32_e32 v164, v164                               // 000000008654: 7F480BA4
	v_cvt_f32_i32_e32 v165, v165                               // 000000008658: 7F4A0BA5
	v_cvt_f32_i32_e32 v166, v166                               // 00000000865C: 7F4C0BA6
	v_cvt_f32_i32_e32 v167, v167                               // 000000008660: 7F4E0BA7
	v_mul_f32_dpp v164, v28, v164 row_newbcast:8 row_mask:0xf bank_mask:0xf// 000000008664: 0B4948FA FF01581C
	v_mul_f32_dpp v165, v28, v165 row_newbcast:9 row_mask:0xf bank_mask:0xf// 00000000866C: 0B4B4AFA FF01591C
	v_mul_f32_dpp v166, v28, v166 row_newbcast:10 row_mask:0xf bank_mask:0xf// 000000008674: 0B4D4CFA FF015A1C
	v_mul_f32_dpp v167, v28, v167 row_newbcast:11 row_mask:0xf bank_mask:0xf// 00000000867C: 0B4F4EFA FF015B1C
	v_cvt_f32_i32_e32 v168, v168                               // 000000008684: 7F500BA8
	v_cvt_f32_i32_e32 v169, v169                               // 000000008688: 7F520BA9
	v_cvt_f32_i32_e32 v170, v170                               // 00000000868C: 7F540BAA
	v_cvt_f32_i32_e32 v171, v171                               // 000000008690: 7F560BAB
	v_mul_f32_dpp v168, v28, v168 row_newbcast:8 row_mask:0xf bank_mask:0xf// 000000008694: 0B5150FA FF01581C
	v_mul_f32_dpp v169, v28, v169 row_newbcast:9 row_mask:0xf bank_mask:0xf// 00000000869C: 0B5352FA FF01591C
	v_mul_f32_dpp v170, v28, v170 row_newbcast:10 row_mask:0xf bank_mask:0xf// 0000000086A4: 0B5554FA FF015A1C
	v_mul_f32_dpp v171, v28, v171 row_newbcast:11 row_mask:0xf bank_mask:0xf// 0000000086AC: 0B5756FA FF015B1C
	v_cvt_f32_i32_e32 v172, v172                               // 0000000086B4: 7F580BAC
	v_cvt_f32_i32_e32 v173, v173                               // 0000000086B8: 7F5A0BAD
	v_cvt_f32_i32_e32 v174, v174                               // 0000000086BC: 7F5C0BAE
	v_cvt_f32_i32_e32 v175, v175                               // 0000000086C0: 7F5E0BAF
	v_mul_f32_dpp v172, v28, v172 row_newbcast:12 row_mask:0xf bank_mask:0xf// 0000000086C4: 0B5958FA FF015C1C
	v_mul_f32_dpp v173, v28, v173 row_newbcast:13 row_mask:0xf bank_mask:0xf// 0000000086CC: 0B5B5AFA FF015D1C
	v_mul_f32_dpp v174, v28, v174 row_newbcast:14 row_mask:0xf bank_mask:0xf// 0000000086D4: 0B5D5CFA FF015E1C
	v_mul_f32_dpp v175, v28, v175 row_newbcast:15 row_mask:0xf bank_mask:0xf// 0000000086DC: 0B5F5EFA FF015F1C
	v_cvt_f32_i32_e32 v176, v176                               // 0000000086E4: 7F600BB0
	v_cvt_f32_i32_e32 v177, v177                               // 0000000086E8: 7F620BB1
	v_cvt_f32_i32_e32 v178, v178                               // 0000000086EC: 7F640BB2
	v_cvt_f32_i32_e32 v179, v179                               // 0000000086F0: 7F660BB3
	v_mul_f32_dpp v176, v28, v176 row_newbcast:12 row_mask:0xf bank_mask:0xf// 0000000086F4: 0B6160FA FF015C1C
	v_mul_f32_dpp v177, v28, v177 row_newbcast:13 row_mask:0xf bank_mask:0xf// 0000000086FC: 0B6362FA FF015D1C
	v_mul_f32_dpp v178, v28, v178 row_newbcast:14 row_mask:0xf bank_mask:0xf// 000000008704: 0B6564FA FF015E1C
	v_mul_f32_dpp v179, v28, v179 row_newbcast:15 row_mask:0xf bank_mask:0xf// 00000000870C: 0B6766FA FF015F1C
	v_mov_b32_e32 v4, v31                                      // 000000008714: 7E08031F
	v_mov_b32_e32 v5, v4                                       // 000000008718: 7E0A0304
	v_pk_mul_f32 v[52:53], v[4:5], v[52:53]                    // 00000000871C: D3B14034 18026904
	v_pk_mul_f32 v[116:117], v[4:5], v[116:117]                // 000000008724: D3B14074 1802E904
	v_pk_mul_f32 v[54:55], v[4:5], v[54:55]                    // 00000000872C: D3B14036 18026D04
	v_pk_mul_f32 v[118:119], v[4:5], v[118:119]                // 000000008734: D3B14076 1802ED04
	v_pk_mul_f32 v[60:61], v[4:5], v[60:61]                    // 00000000873C: D3B1403C 18027904
	v_pk_mul_f32 v[124:125], v[4:5], v[124:125]                // 000000008744: D3B1407C 1802F904
	v_pk_mul_f32 v[62:63], v[4:5], v[62:63]                    // 00000000874C: D3B1403E 18027D04
	v_pk_mul_f32 v[126:127], v[4:5], v[126:127]                // 000000008754: D3B1407E 1802FD04
	v_pk_mul_f32 v[68:69], v[4:5], v[68:69]                    // 00000000875C: D3B14044 18028904
	v_pk_mul_f32 v[132:133], v[4:5], v[132:133]                // 000000008764: D3B14084 18030904
	v_pk_mul_f32 v[70:71], v[4:5], v[70:71]                    // 00000000876C: D3B14046 18028D04
	v_pk_mul_f32 v[134:135], v[4:5], v[134:135]                // 000000008774: D3B14086 18030D04
	v_pk_mul_f32 v[76:77], v[4:5], v[76:77]                    // 00000000877C: D3B1404C 18029904
	v_pk_mul_f32 v[140:141], v[4:5], v[140:141]                // 000000008784: D3B1408C 18031904
	v_pk_mul_f32 v[78:79], v[4:5], v[78:79]                    // 00000000878C: D3B1404E 18029D04
	v_pk_mul_f32 v[142:143], v[4:5], v[142:143]                // 000000008794: D3B1408E 18031D04
	v_pk_mul_f32 v[84:85], v[4:5], v[84:85]                    // 00000000879C: D3B14054 1802A904
	v_pk_mul_f32 v[148:149], v[4:5], v[148:149]                // 0000000087A4: D3B14094 18032904
	v_pk_mul_f32 v[86:87], v[4:5], v[86:87]                    // 0000000087AC: D3B14056 1802AD04
	v_pk_mul_f32 v[150:151], v[4:5], v[150:151]                // 0000000087B4: D3B14096 18032D04
	v_pk_mul_f32 v[92:93], v[4:5], v[92:93]                    // 0000000087BC: D3B1405C 1802B904
	v_pk_mul_f32 v[156:157], v[4:5], v[156:157]                // 0000000087C4: D3B1409C 18033904
	v_pk_mul_f32 v[94:95], v[4:5], v[94:95]                    // 0000000087CC: D3B1405E 1802BD04
	v_pk_mul_f32 v[158:159], v[4:5], v[158:159]                // 0000000087D4: D3B1409E 18033D04
	v_pk_mul_f32 v[100:101], v[4:5], v[100:101]                // 0000000087DC: D3B14064 1802C904
	v_pk_mul_f32 v[164:165], v[4:5], v[164:165]                // 0000000087E4: D3B140A4 18034904
	v_pk_mul_f32 v[102:103], v[4:5], v[102:103]                // 0000000087EC: D3B14066 1802CD04
	v_pk_mul_f32 v[166:167], v[4:5], v[166:167]                // 0000000087F4: D3B140A6 18034D04
	v_pk_mul_f32 v[108:109], v[4:5], v[108:109]                // 0000000087FC: D3B1406C 1802D904
	v_pk_mul_f32 v[172:173], v[4:5], v[172:173]                // 000000008804: D3B140AC 18035904
	v_pk_mul_f32 v[110:111], v[4:5], v[110:111]                // 00000000880C: D3B1406E 1802DD04
	v_pk_mul_f32 v[174:175], v[4:5], v[174:175]                // 000000008814: D3B140AE 18035D04
	v_mov_b32_e32 v4, v32                                      // 00000000881C: 7E080320
	v_mov_b32_e32 v5, v4                                       // 000000008820: 7E0A0304
	v_pk_mul_f32 v[56:57], v[4:5], v[56:57]                    // 000000008824: D3B14038 18027104
	v_pk_mul_f32 v[120:121], v[4:5], v[120:121]                // 00000000882C: D3B14078 1802F104
	v_pk_mul_f32 v[58:59], v[4:5], v[58:59]                    // 000000008834: D3B1403A 18027504
	v_pk_mul_f32 v[122:123], v[4:5], v[122:123]                // 00000000883C: D3B1407A 1802F504
	v_pk_mul_f32 v[64:65], v[4:5], v[64:65]                    // 000000008844: D3B14040 18028104
	v_pk_mul_f32 v[128:129], v[4:5], v[128:129]                // 00000000884C: D3B14080 18030104
	v_pk_mul_f32 v[66:67], v[4:5], v[66:67]                    // 000000008854: D3B14042 18028504
	v_pk_mul_f32 v[130:131], v[4:5], v[130:131]                // 00000000885C: D3B14082 18030504
	v_pk_mul_f32 v[72:73], v[4:5], v[72:73]                    // 000000008864: D3B14048 18029104
	v_pk_mul_f32 v[136:137], v[4:5], v[136:137]                // 00000000886C: D3B14088 18031104
	v_pk_mul_f32 v[74:75], v[4:5], v[74:75]                    // 000000008874: D3B1404A 18029504
	v_pk_mul_f32 v[138:139], v[4:5], v[138:139]                // 00000000887C: D3B1408A 18031504
	v_pk_mul_f32 v[80:81], v[4:5], v[80:81]                    // 000000008884: D3B14050 1802A104
	v_pk_mul_f32 v[144:145], v[4:5], v[144:145]                // 00000000888C: D3B14090 18032104
	v_pk_mul_f32 v[82:83], v[4:5], v[82:83]                    // 000000008894: D3B14052 1802A504
	v_pk_mul_f32 v[146:147], v[4:5], v[146:147]                // 00000000889C: D3B14092 18032504
	v_pk_mul_f32 v[88:89], v[4:5], v[88:89]                    // 0000000088A4: D3B14058 1802B104
	v_pk_mul_f32 v[152:153], v[4:5], v[152:153]                // 0000000088AC: D3B14098 18033104
	v_pk_mul_f32 v[90:91], v[4:5], v[90:91]                    // 0000000088B4: D3B1405A 1802B504
	v_pk_mul_f32 v[154:155], v[4:5], v[154:155]                // 0000000088BC: D3B1409A 18033504
	v_pk_mul_f32 v[96:97], v[4:5], v[96:97]                    // 0000000088C4: D3B14060 1802C104
	v_pk_mul_f32 v[160:161], v[4:5], v[160:161]                // 0000000088CC: D3B140A0 18034104
	v_pk_mul_f32 v[98:99], v[4:5], v[98:99]                    // 0000000088D4: D3B14062 1802C504
	v_pk_mul_f32 v[162:163], v[4:5], v[162:163]                // 0000000088DC: D3B140A2 18034504
	v_pk_mul_f32 v[104:105], v[4:5], v[104:105]                // 0000000088E4: D3B14068 1802D104
	v_pk_mul_f32 v[168:169], v[4:5], v[168:169]                // 0000000088EC: D3B140A8 18035104
	v_pk_mul_f32 v[106:107], v[4:5], v[106:107]                // 0000000088F4: D3B1406A 1802D504
	v_pk_mul_f32 v[170:171], v[4:5], v[170:171]                // 0000000088FC: D3B140AA 18035504
	v_pk_mul_f32 v[112:113], v[4:5], v[112:113]                // 000000008904: D3B14070 1802E104
	v_pk_mul_f32 v[176:177], v[4:5], v[176:177]                // 00000000890C: D3B140B0 18036104
	v_pk_mul_f32 v[114:115], v[4:5], v[114:115]                // 000000008914: D3B14072 1802E504
	v_pk_mul_f32 v[178:179], v[4:5], v[178:179]                // 00000000891C: D3B140B2 18036504
	s_cmp_eq_u32 s88, 0                                        // 000000008924: BF068058
	s_cbranch_scc0 label_1F67                                  // 000000008928: BF840799
	s_cmp_eq_u32 s89, 0                                        // 00000000892C: BF068059
	s_cbranch_scc1 label_1A55                                  // 000000008930: BF850285
	v_mov_b32_e32 v8, v1                                       // 000000008934: 7E100301
	v_mov_b32_e32 v9, v1                                       // 000000008938: 7E120301
	s_mov_b32 s60, s6                                          // 00000000893C: BEBC0006
	s_mov_b32 s61, s6                                          // 000000008940: BEBD0006
	v_pk_mul_f32 v[4:5], v[52:53], v[52:53]                    // 000000008944: D3B14004 18026934
	v_pk_mul_f32 v[6:7], v[54:55], v[54:55]                    // 00000000894C: D3B14006 18026D36
	v_pk_fma_f32 v[4:5], v[4:5], s[78:79], v[8:9]              // 000000008954: D3B04004 1C209D04
	v_pk_fma_f32 v[6:7], v[6:7], s[78:79], v[8:9]              // 00000000895C: D3B04006 1C209D06
	v_pk_mul_f32 v[4:5], v[4:5], v[52:53]                      // 000000008964: D3B14004 18026904
	v_pk_mul_f32 v[6:7], v[6:7], v[54:55]                      // 00000000896C: D3B14006 18026D06
	v_pk_mul_f32 v[4:5], v[4:5], s[60:61]                      // 000000008974: D3B14004 18007904
	v_pk_mul_f32 v[6:7], v[6:7], s[60:61]                      // 00000000897C: D3B14006 18007906
	v_exp_f32_e32 v4, v4                                       // 000000008984: 7E084104
	v_exp_f32_e32 v5, v5                                       // 000000008988: 7E0A4105
	v_exp_f32_e32 v6, v6                                       // 00000000898C: 7E0C4106
	v_exp_f32_e32 v7, v7                                       // 000000008990: 7E0E4107
	v_add_f32_e64 v4, v4, 1.0                                  // 000000008994: D1010004 0001E504
	v_add_f32_e64 v5, v5, 1.0                                  // 00000000899C: D1010005 0001E505
	v_add_f32_e64 v6, v6, 1.0                                  // 0000000089A4: D1010006 0001E506
	v_add_f32_e64 v7, v7, 1.0                                  // 0000000089AC: D1010007 0001E507
	v_rcp_f32_e32 v4, v4                                       // 0000000089B4: 7E084504
	v_rcp_f32_e32 v5, v5                                       // 0000000089B8: 7E0A4505
	v_rcp_f32_e32 v6, v6                                       // 0000000089BC: 7E0C4506
	v_rcp_f32_e32 v7, v7                                       // 0000000089C0: 7E0E4507
	v_mul_f32_e32 v52, v52, v4                                 // 0000000089C4: 0A680934
	v_mul_f32_e32 v53, v53, v5                                 // 0000000089C8: 0A6A0B35
	v_mul_f32_e32 v54, v54, v6                                 // 0000000089CC: 0A6C0D36
	v_mul_f32_e32 v55, v55, v7                                 // 0000000089D0: 0A6E0F37
	v_mul_f32_e32 v52, v52, v116                               // 0000000089D4: 0A68E934
	v_mul_f32_e32 v53, v53, v117                               // 0000000089D8: 0A6AEB35
	v_mul_f32_e32 v54, v54, v118                               // 0000000089DC: 0A6CED36
	v_mul_f32_e32 v55, v55, v119                               // 0000000089E0: 0A6EEF37
	v_pk_mul_f32 v[4:5], v[56:57], v[56:57]                    // 0000000089E4: D3B14004 18027138
	v_pk_mul_f32 v[6:7], v[58:59], v[58:59]                    // 0000000089EC: D3B14006 1802753A
	v_pk_fma_f32 v[4:5], v[4:5], s[78:79], v[8:9]              // 0000000089F4: D3B04004 1C209D04
	v_pk_fma_f32 v[6:7], v[6:7], s[78:79], v[8:9]              // 0000000089FC: D3B04006 1C209D06
	v_pk_mul_f32 v[4:5], v[4:5], v[56:57]                      // 000000008A04: D3B14004 18027104
	v_pk_mul_f32 v[6:7], v[6:7], v[58:59]                      // 000000008A0C: D3B14006 18027506
	v_pk_mul_f32 v[4:5], v[4:5], s[60:61]                      // 000000008A14: D3B14004 18007904
	v_pk_mul_f32 v[6:7], v[6:7], s[60:61]                      // 000000008A1C: D3B14006 18007906
	v_exp_f32_e32 v4, v4                                       // 000000008A24: 7E084104
	v_exp_f32_e32 v5, v5                                       // 000000008A28: 7E0A4105
	v_exp_f32_e32 v6, v6                                       // 000000008A2C: 7E0C4106
	v_exp_f32_e32 v7, v7                                       // 000000008A30: 7E0E4107
	v_add_f32_e64 v4, v4, 1.0                                  // 000000008A34: D1010004 0001E504
	v_add_f32_e64 v5, v5, 1.0                                  // 000000008A3C: D1010005 0001E505
	v_add_f32_e64 v6, v6, 1.0                                  // 000000008A44: D1010006 0001E506
	v_add_f32_e64 v7, v7, 1.0                                  // 000000008A4C: D1010007 0001E507
	v_rcp_f32_e32 v4, v4                                       // 000000008A54: 7E084504
	v_rcp_f32_e32 v5, v5                                       // 000000008A58: 7E0A4505
	v_rcp_f32_e32 v6, v6                                       // 000000008A5C: 7E0C4506
	v_rcp_f32_e32 v7, v7                                       // 000000008A60: 7E0E4507
	v_mul_f32_e32 v56, v56, v4                                 // 000000008A64: 0A700938
	v_mul_f32_e32 v57, v57, v5                                 // 000000008A68: 0A720B39
	v_mul_f32_e32 v58, v58, v6                                 // 000000008A6C: 0A740D3A
	v_mul_f32_e32 v59, v59, v7                                 // 000000008A70: 0A760F3B
	v_mul_f32_e32 v56, v56, v120                               // 000000008A74: 0A70F138
	v_mul_f32_e32 v57, v57, v121                               // 000000008A78: 0A72F339
	v_mul_f32_e32 v58, v58, v122                               // 000000008A7C: 0A74F53A
	v_mul_f32_e32 v59, v59, v123                               // 000000008A80: 0A76F73B
	v_pk_mul_f32 v[4:5], v[60:61], v[60:61]                    // 000000008A84: D3B14004 1802793C
	v_pk_mul_f32 v[6:7], v[62:63], v[62:63]                    // 000000008A8C: D3B14006 18027D3E
	v_pk_fma_f32 v[4:5], v[4:5], s[78:79], v[8:9]              // 000000008A94: D3B04004 1C209D04
	v_pk_fma_f32 v[6:7], v[6:7], s[78:79], v[8:9]              // 000000008A9C: D3B04006 1C209D06
	v_pk_mul_f32 v[4:5], v[4:5], v[60:61]                      // 000000008AA4: D3B14004 18027904
	v_pk_mul_f32 v[6:7], v[6:7], v[62:63]                      // 000000008AAC: D3B14006 18027D06
	v_pk_mul_f32 v[4:5], v[4:5], s[60:61]                      // 000000008AB4: D3B14004 18007904
	v_pk_mul_f32 v[6:7], v[6:7], s[60:61]                      // 000000008ABC: D3B14006 18007906
	v_exp_f32_e32 v4, v4                                       // 000000008AC4: 7E084104
	v_exp_f32_e32 v5, v5                                       // 000000008AC8: 7E0A4105
	v_exp_f32_e32 v6, v6                                       // 000000008ACC: 7E0C4106
	v_exp_f32_e32 v7, v7                                       // 000000008AD0: 7E0E4107
	v_add_f32_e64 v4, v4, 1.0                                  // 000000008AD4: D1010004 0001E504
	v_add_f32_e64 v5, v5, 1.0                                  // 000000008ADC: D1010005 0001E505
	v_add_f32_e64 v6, v6, 1.0                                  // 000000008AE4: D1010006 0001E506
	v_add_f32_e64 v7, v7, 1.0                                  // 000000008AEC: D1010007 0001E507
	v_rcp_f32_e32 v4, v4                                       // 000000008AF4: 7E084504
	v_rcp_f32_e32 v5, v5                                       // 000000008AF8: 7E0A4505
	v_rcp_f32_e32 v6, v6                                       // 000000008AFC: 7E0C4506
	v_rcp_f32_e32 v7, v7                                       // 000000008B00: 7E0E4507
	v_mul_f32_e32 v60, v60, v4                                 // 000000008B04: 0A78093C
	v_mul_f32_e32 v61, v61, v5                                 // 000000008B08: 0A7A0B3D
	v_mul_f32_e32 v62, v62, v6                                 // 000000008B0C: 0A7C0D3E
	v_mul_f32_e32 v63, v63, v7                                 // 000000008B10: 0A7E0F3F
	v_mul_f32_e32 v60, v60, v124                               // 000000008B14: 0A78F93C
	v_mul_f32_e32 v61, v61, v125                               // 000000008B18: 0A7AFB3D
	v_mul_f32_e32 v62, v62, v126                               // 000000008B1C: 0A7CFD3E
	v_mul_f32_e32 v63, v63, v127                               // 000000008B20: 0A7EFF3F
	v_pk_mul_f32 v[4:5], v[64:65], v[64:65]                    // 000000008B24: D3B14004 18028140
	v_pk_mul_f32 v[6:7], v[66:67], v[66:67]                    // 000000008B2C: D3B14006 18028542
	v_pk_fma_f32 v[4:5], v[4:5], s[78:79], v[8:9]              // 000000008B34: D3B04004 1C209D04
	v_pk_fma_f32 v[6:7], v[6:7], s[78:79], v[8:9]              // 000000008B3C: D3B04006 1C209D06
	v_pk_mul_f32 v[4:5], v[4:5], v[64:65]                      // 000000008B44: D3B14004 18028104
	v_pk_mul_f32 v[6:7], v[6:7], v[66:67]                      // 000000008B4C: D3B14006 18028506
	v_pk_mul_f32 v[4:5], v[4:5], s[60:61]                      // 000000008B54: D3B14004 18007904
	v_pk_mul_f32 v[6:7], v[6:7], s[60:61]                      // 000000008B5C: D3B14006 18007906
	v_exp_f32_e32 v4, v4                                       // 000000008B64: 7E084104
	v_exp_f32_e32 v5, v5                                       // 000000008B68: 7E0A4105
	v_exp_f32_e32 v6, v6                                       // 000000008B6C: 7E0C4106
	v_exp_f32_e32 v7, v7                                       // 000000008B70: 7E0E4107
	v_add_f32_e64 v4, v4, 1.0                                  // 000000008B74: D1010004 0001E504
	v_add_f32_e64 v5, v5, 1.0                                  // 000000008B7C: D1010005 0001E505
	v_add_f32_e64 v6, v6, 1.0                                  // 000000008B84: D1010006 0001E506
	v_add_f32_e64 v7, v7, 1.0                                  // 000000008B8C: D1010007 0001E507
	v_rcp_f32_e32 v4, v4                                       // 000000008B94: 7E084504
	v_rcp_f32_e32 v5, v5                                       // 000000008B98: 7E0A4505
	v_rcp_f32_e32 v6, v6                                       // 000000008B9C: 7E0C4506
	v_rcp_f32_e32 v7, v7                                       // 000000008BA0: 7E0E4507
	v_mul_f32_e32 v64, v64, v4                                 // 000000008BA4: 0A800940
	v_mul_f32_e32 v65, v65, v5                                 // 000000008BA8: 0A820B41
	v_mul_f32_e32 v66, v66, v6                                 // 000000008BAC: 0A840D42
	v_mul_f32_e32 v67, v67, v7                                 // 000000008BB0: 0A860F43
	v_mul_f32_e32 v64, v64, v128                               // 000000008BB4: 0A810140
	v_mul_f32_e32 v65, v65, v129                               // 000000008BB8: 0A830341
	v_mul_f32_e32 v66, v66, v130                               // 000000008BBC: 0A850542
	v_mul_f32_e32 v67, v67, v131                               // 000000008BC0: 0A870743
	v_pk_mul_f32 v[4:5], v[68:69], v[68:69]                    // 000000008BC4: D3B14004 18028944
	v_pk_mul_f32 v[6:7], v[70:71], v[70:71]                    // 000000008BCC: D3B14006 18028D46
	v_pk_fma_f32 v[4:5], v[4:5], s[78:79], v[8:9]              // 000000008BD4: D3B04004 1C209D04
	v_pk_fma_f32 v[6:7], v[6:7], s[78:79], v[8:9]              // 000000008BDC: D3B04006 1C209D06
	v_pk_mul_f32 v[4:5], v[4:5], v[68:69]                      // 000000008BE4: D3B14004 18028904
	v_pk_mul_f32 v[6:7], v[6:7], v[70:71]                      // 000000008BEC: D3B14006 18028D06
	v_pk_mul_f32 v[4:5], v[4:5], s[60:61]                      // 000000008BF4: D3B14004 18007904
	v_pk_mul_f32 v[6:7], v[6:7], s[60:61]                      // 000000008BFC: D3B14006 18007906
	v_exp_f32_e32 v4, v4                                       // 000000008C04: 7E084104
	v_exp_f32_e32 v5, v5                                       // 000000008C08: 7E0A4105
	v_exp_f32_e32 v6, v6                                       // 000000008C0C: 7E0C4106
	v_exp_f32_e32 v7, v7                                       // 000000008C10: 7E0E4107
	v_add_f32_e64 v4, v4, 1.0                                  // 000000008C14: D1010004 0001E504
	v_add_f32_e64 v5, v5, 1.0                                  // 000000008C1C: D1010005 0001E505
	v_add_f32_e64 v6, v6, 1.0                                  // 000000008C24: D1010006 0001E506
	v_add_f32_e64 v7, v7, 1.0                                  // 000000008C2C: D1010007 0001E507
	v_rcp_f32_e32 v4, v4                                       // 000000008C34: 7E084504
	v_rcp_f32_e32 v5, v5                                       // 000000008C38: 7E0A4505
	v_rcp_f32_e32 v6, v6                                       // 000000008C3C: 7E0C4506
	v_rcp_f32_e32 v7, v7                                       // 000000008C40: 7E0E4507
	v_mul_f32_e32 v68, v68, v4                                 // 000000008C44: 0A880944
	v_mul_f32_e32 v69, v69, v5                                 // 000000008C48: 0A8A0B45
	v_mul_f32_e32 v70, v70, v6                                 // 000000008C4C: 0A8C0D46
	v_mul_f32_e32 v71, v71, v7                                 // 000000008C50: 0A8E0F47
	v_mul_f32_e32 v68, v68, v132                               // 000000008C54: 0A890944
	v_mul_f32_e32 v69, v69, v133                               // 000000008C58: 0A8B0B45
	v_mul_f32_e32 v70, v70, v134                               // 000000008C5C: 0A8D0D46
	v_mul_f32_e32 v71, v71, v135                               // 000000008C60: 0A8F0F47
	v_pk_mul_f32 v[4:5], v[72:73], v[72:73]                    // 000000008C64: D3B14004 18029148
	v_pk_mul_f32 v[6:7], v[74:75], v[74:75]                    // 000000008C6C: D3B14006 1802954A
	v_pk_fma_f32 v[4:5], v[4:5], s[78:79], v[8:9]              // 000000008C74: D3B04004 1C209D04
	v_pk_fma_f32 v[6:7], v[6:7], s[78:79], v[8:9]              // 000000008C7C: D3B04006 1C209D06
	v_pk_mul_f32 v[4:5], v[4:5], v[72:73]                      // 000000008C84: D3B14004 18029104
	v_pk_mul_f32 v[6:7], v[6:7], v[74:75]                      // 000000008C8C: D3B14006 18029506
	v_pk_mul_f32 v[4:5], v[4:5], s[60:61]                      // 000000008C94: D3B14004 18007904
	v_pk_mul_f32 v[6:7], v[6:7], s[60:61]                      // 000000008C9C: D3B14006 18007906
	v_exp_f32_e32 v4, v4                                       // 000000008CA4: 7E084104
	v_exp_f32_e32 v5, v5                                       // 000000008CA8: 7E0A4105
	v_exp_f32_e32 v6, v6                                       // 000000008CAC: 7E0C4106
	v_exp_f32_e32 v7, v7                                       // 000000008CB0: 7E0E4107
	v_add_f32_e64 v4, v4, 1.0                                  // 000000008CB4: D1010004 0001E504
	v_add_f32_e64 v5, v5, 1.0                                  // 000000008CBC: D1010005 0001E505
	v_add_f32_e64 v6, v6, 1.0                                  // 000000008CC4: D1010006 0001E506
	v_add_f32_e64 v7, v7, 1.0                                  // 000000008CCC: D1010007 0001E507
	v_rcp_f32_e32 v4, v4                                       // 000000008CD4: 7E084504
	v_rcp_f32_e32 v5, v5                                       // 000000008CD8: 7E0A4505
	v_rcp_f32_e32 v6, v6                                       // 000000008CDC: 7E0C4506
	v_rcp_f32_e32 v7, v7                                       // 000000008CE0: 7E0E4507
	v_mul_f32_e32 v72, v72, v4                                 // 000000008CE4: 0A900948
	v_mul_f32_e32 v73, v73, v5                                 // 000000008CE8: 0A920B49
	v_mul_f32_e32 v74, v74, v6                                 // 000000008CEC: 0A940D4A
	v_mul_f32_e32 v75, v75, v7                                 // 000000008CF0: 0A960F4B
	v_mul_f32_e32 v72, v72, v136                               // 000000008CF4: 0A911148
	v_mul_f32_e32 v73, v73, v137                               // 000000008CF8: 0A931349
	v_mul_f32_e32 v74, v74, v138                               // 000000008CFC: 0A95154A
	v_mul_f32_e32 v75, v75, v139                               // 000000008D00: 0A97174B
	v_pk_mul_f32 v[4:5], v[76:77], v[76:77]                    // 000000008D04: D3B14004 1802994C
	v_pk_mul_f32 v[6:7], v[78:79], v[78:79]                    // 000000008D0C: D3B14006 18029D4E
	v_pk_fma_f32 v[4:5], v[4:5], s[78:79], v[8:9]              // 000000008D14: D3B04004 1C209D04
	v_pk_fma_f32 v[6:7], v[6:7], s[78:79], v[8:9]              // 000000008D1C: D3B04006 1C209D06
	v_pk_mul_f32 v[4:5], v[4:5], v[76:77]                      // 000000008D24: D3B14004 18029904
	v_pk_mul_f32 v[6:7], v[6:7], v[78:79]                      // 000000008D2C: D3B14006 18029D06
	v_pk_mul_f32 v[4:5], v[4:5], s[60:61]                      // 000000008D34: D3B14004 18007904
	v_pk_mul_f32 v[6:7], v[6:7], s[60:61]                      // 000000008D3C: D3B14006 18007906
	v_exp_f32_e32 v4, v4                                       // 000000008D44: 7E084104
	v_exp_f32_e32 v5, v5                                       // 000000008D48: 7E0A4105
	v_exp_f32_e32 v6, v6                                       // 000000008D4C: 7E0C4106
	v_exp_f32_e32 v7, v7                                       // 000000008D50: 7E0E4107
	v_add_f32_e64 v4, v4, 1.0                                  // 000000008D54: D1010004 0001E504
	v_add_f32_e64 v5, v5, 1.0                                  // 000000008D5C: D1010005 0001E505
	v_add_f32_e64 v6, v6, 1.0                                  // 000000008D64: D1010006 0001E506
	v_add_f32_e64 v7, v7, 1.0                                  // 000000008D6C: D1010007 0001E507
	v_rcp_f32_e32 v4, v4                                       // 000000008D74: 7E084504
	v_rcp_f32_e32 v5, v5                                       // 000000008D78: 7E0A4505
	v_rcp_f32_e32 v6, v6                                       // 000000008D7C: 7E0C4506
	v_rcp_f32_e32 v7, v7                                       // 000000008D80: 7E0E4507
	v_mul_f32_e32 v76, v76, v4                                 // 000000008D84: 0A98094C
	v_mul_f32_e32 v77, v77, v5                                 // 000000008D88: 0A9A0B4D
	v_mul_f32_e32 v78, v78, v6                                 // 000000008D8C: 0A9C0D4E
	v_mul_f32_e32 v79, v79, v7                                 // 000000008D90: 0A9E0F4F
	v_mul_f32_e32 v76, v76, v140                               // 000000008D94: 0A99194C
	v_mul_f32_e32 v77, v77, v141                               // 000000008D98: 0A9B1B4D
	v_mul_f32_e32 v78, v78, v142                               // 000000008D9C: 0A9D1D4E
	v_mul_f32_e32 v79, v79, v143                               // 000000008DA0: 0A9F1F4F
	v_pk_mul_f32 v[4:5], v[80:81], v[80:81]                    // 000000008DA4: D3B14004 1802A150
	v_pk_mul_f32 v[6:7], v[82:83], v[82:83]                    // 000000008DAC: D3B14006 1802A552
	v_pk_fma_f32 v[4:5], v[4:5], s[78:79], v[8:9]              // 000000008DB4: D3B04004 1C209D04
	v_pk_fma_f32 v[6:7], v[6:7], s[78:79], v[8:9]              // 000000008DBC: D3B04006 1C209D06
	v_pk_mul_f32 v[4:5], v[4:5], v[80:81]                      // 000000008DC4: D3B14004 1802A104
	v_pk_mul_f32 v[6:7], v[6:7], v[82:83]                      // 000000008DCC: D3B14006 1802A506
	v_pk_mul_f32 v[4:5], v[4:5], s[60:61]                      // 000000008DD4: D3B14004 18007904
	v_pk_mul_f32 v[6:7], v[6:7], s[60:61]                      // 000000008DDC: D3B14006 18007906
	v_exp_f32_e32 v4, v4                                       // 000000008DE4: 7E084104
	v_exp_f32_e32 v5, v5                                       // 000000008DE8: 7E0A4105
	v_exp_f32_e32 v6, v6                                       // 000000008DEC: 7E0C4106
	v_exp_f32_e32 v7, v7                                       // 000000008DF0: 7E0E4107
	v_add_f32_e64 v4, v4, 1.0                                  // 000000008DF4: D1010004 0001E504
	v_add_f32_e64 v5, v5, 1.0                                  // 000000008DFC: D1010005 0001E505
	v_add_f32_e64 v6, v6, 1.0                                  // 000000008E04: D1010006 0001E506
	v_add_f32_e64 v7, v7, 1.0                                  // 000000008E0C: D1010007 0001E507
	v_rcp_f32_e32 v4, v4                                       // 000000008E14: 7E084504
	v_rcp_f32_e32 v5, v5                                       // 000000008E18: 7E0A4505
	v_rcp_f32_e32 v6, v6                                       // 000000008E1C: 7E0C4506
	v_rcp_f32_e32 v7, v7                                       // 000000008E20: 7E0E4507
	v_mul_f32_e32 v80, v80, v4                                 // 000000008E24: 0AA00950
	v_mul_f32_e32 v81, v81, v5                                 // 000000008E28: 0AA20B51
	v_mul_f32_e32 v82, v82, v6                                 // 000000008E2C: 0AA40D52
	v_mul_f32_e32 v83, v83, v7                                 // 000000008E30: 0AA60F53
	v_mul_f32_e32 v80, v80, v144                               // 000000008E34: 0AA12150
	v_mul_f32_e32 v81, v81, v145                               // 000000008E38: 0AA32351
	v_mul_f32_e32 v82, v82, v146                               // 000000008E3C: 0AA52552
	v_mul_f32_e32 v83, v83, v147                               // 000000008E40: 0AA72753
	v_pk_mul_f32 v[4:5], v[84:85], v[84:85]                    // 000000008E44: D3B14004 1802A954
	v_pk_mul_f32 v[6:7], v[86:87], v[86:87]                    // 000000008E4C: D3B14006 1802AD56
	v_pk_fma_f32 v[4:5], v[4:5], s[78:79], v[8:9]              // 000000008E54: D3B04004 1C209D04
	v_pk_fma_f32 v[6:7], v[6:7], s[78:79], v[8:9]              // 000000008E5C: D3B04006 1C209D06
	v_pk_mul_f32 v[4:5], v[4:5], v[84:85]                      // 000000008E64: D3B14004 1802A904
	v_pk_mul_f32 v[6:7], v[6:7], v[86:87]                      // 000000008E6C: D3B14006 1802AD06
	v_pk_mul_f32 v[4:5], v[4:5], s[60:61]                      // 000000008E74: D3B14004 18007904
	v_pk_mul_f32 v[6:7], v[6:7], s[60:61]                      // 000000008E7C: D3B14006 18007906
	v_exp_f32_e32 v4, v4                                       // 000000008E84: 7E084104
	v_exp_f32_e32 v5, v5                                       // 000000008E88: 7E0A4105
	v_exp_f32_e32 v6, v6                                       // 000000008E8C: 7E0C4106
	v_exp_f32_e32 v7, v7                                       // 000000008E90: 7E0E4107
	v_add_f32_e64 v4, v4, 1.0                                  // 000000008E94: D1010004 0001E504
	v_add_f32_e64 v5, v5, 1.0                                  // 000000008E9C: D1010005 0001E505
	v_add_f32_e64 v6, v6, 1.0                                  // 000000008EA4: D1010006 0001E506
	v_add_f32_e64 v7, v7, 1.0                                  // 000000008EAC: D1010007 0001E507
	v_rcp_f32_e32 v4, v4                                       // 000000008EB4: 7E084504
	v_rcp_f32_e32 v5, v5                                       // 000000008EB8: 7E0A4505
	v_rcp_f32_e32 v6, v6                                       // 000000008EBC: 7E0C4506
	v_rcp_f32_e32 v7, v7                                       // 000000008EC0: 7E0E4507
	v_mul_f32_e32 v84, v84, v4                                 // 000000008EC4: 0AA80954
	v_mul_f32_e32 v85, v85, v5                                 // 000000008EC8: 0AAA0B55
	v_mul_f32_e32 v86, v86, v6                                 // 000000008ECC: 0AAC0D56
	v_mul_f32_e32 v87, v87, v7                                 // 000000008ED0: 0AAE0F57
	v_mul_f32_e32 v84, v84, v148                               // 000000008ED4: 0AA92954
	v_mul_f32_e32 v85, v85, v149                               // 000000008ED8: 0AAB2B55
	v_mul_f32_e32 v86, v86, v150                               // 000000008EDC: 0AAD2D56
	v_mul_f32_e32 v87, v87, v151                               // 000000008EE0: 0AAF2F57
	v_pk_mul_f32 v[4:5], v[88:89], v[88:89]                    // 000000008EE4: D3B14004 1802B158
	v_pk_mul_f32 v[6:7], v[90:91], v[90:91]                    // 000000008EEC: D3B14006 1802B55A
	v_pk_fma_f32 v[4:5], v[4:5], s[78:79], v[8:9]              // 000000008EF4: D3B04004 1C209D04
	v_pk_fma_f32 v[6:7], v[6:7], s[78:79], v[8:9]              // 000000008EFC: D3B04006 1C209D06
	v_pk_mul_f32 v[4:5], v[4:5], v[88:89]                      // 000000008F04: D3B14004 1802B104
	v_pk_mul_f32 v[6:7], v[6:7], v[90:91]                      // 000000008F0C: D3B14006 1802B506
	v_pk_mul_f32 v[4:5], v[4:5], s[60:61]                      // 000000008F14: D3B14004 18007904
	v_pk_mul_f32 v[6:7], v[6:7], s[60:61]                      // 000000008F1C: D3B14006 18007906
	v_exp_f32_e32 v4, v4                                       // 000000008F24: 7E084104
	v_exp_f32_e32 v5, v5                                       // 000000008F28: 7E0A4105
	v_exp_f32_e32 v6, v6                                       // 000000008F2C: 7E0C4106
	v_exp_f32_e32 v7, v7                                       // 000000008F30: 7E0E4107
	v_add_f32_e64 v4, v4, 1.0                                  // 000000008F34: D1010004 0001E504
	v_add_f32_e64 v5, v5, 1.0                                  // 000000008F3C: D1010005 0001E505
	v_add_f32_e64 v6, v6, 1.0                                  // 000000008F44: D1010006 0001E506
	v_add_f32_e64 v7, v7, 1.0                                  // 000000008F4C: D1010007 0001E507
	v_rcp_f32_e32 v4, v4                                       // 000000008F54: 7E084504
	v_rcp_f32_e32 v5, v5                                       // 000000008F58: 7E0A4505
	v_rcp_f32_e32 v6, v6                                       // 000000008F5C: 7E0C4506
	v_rcp_f32_e32 v7, v7                                       // 000000008F60: 7E0E4507
	v_mul_f32_e32 v88, v88, v4                                 // 000000008F64: 0AB00958
	v_mul_f32_e32 v89, v89, v5                                 // 000000008F68: 0AB20B59
	v_mul_f32_e32 v90, v90, v6                                 // 000000008F6C: 0AB40D5A
	v_mul_f32_e32 v91, v91, v7                                 // 000000008F70: 0AB60F5B
	v_mul_f32_e32 v88, v88, v152                               // 000000008F74: 0AB13158
	v_mul_f32_e32 v89, v89, v153                               // 000000008F78: 0AB33359
	v_mul_f32_e32 v90, v90, v154                               // 000000008F7C: 0AB5355A
	v_mul_f32_e32 v91, v91, v155                               // 000000008F80: 0AB7375B
	v_pk_mul_f32 v[4:5], v[92:93], v[92:93]                    // 000000008F84: D3B14004 1802B95C
	v_pk_mul_f32 v[6:7], v[94:95], v[94:95]                    // 000000008F8C: D3B14006 1802BD5E
	v_pk_fma_f32 v[4:5], v[4:5], s[78:79], v[8:9]              // 000000008F94: D3B04004 1C209D04
	v_pk_fma_f32 v[6:7], v[6:7], s[78:79], v[8:9]              // 000000008F9C: D3B04006 1C209D06
	v_pk_mul_f32 v[4:5], v[4:5], v[92:93]                      // 000000008FA4: D3B14004 1802B904
	v_pk_mul_f32 v[6:7], v[6:7], v[94:95]                      // 000000008FAC: D3B14006 1802BD06
	v_pk_mul_f32 v[4:5], v[4:5], s[60:61]                      // 000000008FB4: D3B14004 18007904
	v_pk_mul_f32 v[6:7], v[6:7], s[60:61]                      // 000000008FBC: D3B14006 18007906
	v_exp_f32_e32 v4, v4                                       // 000000008FC4: 7E084104
	v_exp_f32_e32 v5, v5                                       // 000000008FC8: 7E0A4105
	v_exp_f32_e32 v6, v6                                       // 000000008FCC: 7E0C4106
	v_exp_f32_e32 v7, v7                                       // 000000008FD0: 7E0E4107
	v_add_f32_e64 v4, v4, 1.0                                  // 000000008FD4: D1010004 0001E504
	v_add_f32_e64 v5, v5, 1.0                                  // 000000008FDC: D1010005 0001E505
	v_add_f32_e64 v6, v6, 1.0                                  // 000000008FE4: D1010006 0001E506
	v_add_f32_e64 v7, v7, 1.0                                  // 000000008FEC: D1010007 0001E507
	v_rcp_f32_e32 v4, v4                                       // 000000008FF4: 7E084504
	v_rcp_f32_e32 v5, v5                                       // 000000008FF8: 7E0A4505
	v_rcp_f32_e32 v6, v6                                       // 000000008FFC: 7E0C4506
	v_rcp_f32_e32 v7, v7                                       // 000000009000: 7E0E4507
	v_mul_f32_e32 v92, v92, v4                                 // 000000009004: 0AB8095C
	v_mul_f32_e32 v93, v93, v5                                 // 000000009008: 0ABA0B5D
	v_mul_f32_e32 v94, v94, v6                                 // 00000000900C: 0ABC0D5E
	v_mul_f32_e32 v95, v95, v7                                 // 000000009010: 0ABE0F5F
	v_mul_f32_e32 v92, v92, v156                               // 000000009014: 0AB9395C
	v_mul_f32_e32 v93, v93, v157                               // 000000009018: 0ABB3B5D
	v_mul_f32_e32 v94, v94, v158                               // 00000000901C: 0ABD3D5E
	v_mul_f32_e32 v95, v95, v159                               // 000000009020: 0ABF3F5F
	v_pk_mul_f32 v[4:5], v[96:97], v[96:97]                    // 000000009024: D3B14004 1802C160
	v_pk_mul_f32 v[6:7], v[98:99], v[98:99]                    // 00000000902C: D3B14006 1802C562
	v_pk_fma_f32 v[4:5], v[4:5], s[78:79], v[8:9]              // 000000009034: D3B04004 1C209D04
	v_pk_fma_f32 v[6:7], v[6:7], s[78:79], v[8:9]              // 00000000903C: D3B04006 1C209D06
	v_pk_mul_f32 v[4:5], v[4:5], v[96:97]                      // 000000009044: D3B14004 1802C104
	v_pk_mul_f32 v[6:7], v[6:7], v[98:99]                      // 00000000904C: D3B14006 1802C506
	v_pk_mul_f32 v[4:5], v[4:5], s[60:61]                      // 000000009054: D3B14004 18007904
	v_pk_mul_f32 v[6:7], v[6:7], s[60:61]                      // 00000000905C: D3B14006 18007906
	v_exp_f32_e32 v4, v4                                       // 000000009064: 7E084104
	v_exp_f32_e32 v5, v5                                       // 000000009068: 7E0A4105
	v_exp_f32_e32 v6, v6                                       // 00000000906C: 7E0C4106
	v_exp_f32_e32 v7, v7                                       // 000000009070: 7E0E4107
	v_add_f32_e64 v4, v4, 1.0                                  // 000000009074: D1010004 0001E504
	v_add_f32_e64 v5, v5, 1.0                                  // 00000000907C: D1010005 0001E505
	v_add_f32_e64 v6, v6, 1.0                                  // 000000009084: D1010006 0001E506
	v_add_f32_e64 v7, v7, 1.0                                  // 00000000908C: D1010007 0001E507
	v_rcp_f32_e32 v4, v4                                       // 000000009094: 7E084504
	v_rcp_f32_e32 v5, v5                                       // 000000009098: 7E0A4505
	v_rcp_f32_e32 v6, v6                                       // 00000000909C: 7E0C4506
	v_rcp_f32_e32 v7, v7                                       // 0000000090A0: 7E0E4507
	v_mul_f32_e32 v96, v96, v4                                 // 0000000090A4: 0AC00960
	v_mul_f32_e32 v97, v97, v5                                 // 0000000090A8: 0AC20B61
	v_mul_f32_e32 v98, v98, v6                                 // 0000000090AC: 0AC40D62
	v_mul_f32_e32 v99, v99, v7                                 // 0000000090B0: 0AC60F63
	v_mul_f32_e32 v96, v96, v160                               // 0000000090B4: 0AC14160
	v_mul_f32_e32 v97, v97, v161                               // 0000000090B8: 0AC34361
	v_mul_f32_e32 v98, v98, v162                               // 0000000090BC: 0AC54562
	v_mul_f32_e32 v99, v99, v163                               // 0000000090C0: 0AC74763
	v_pk_mul_f32 v[4:5], v[100:101], v[100:101]                // 0000000090C4: D3B14004 1802C964
	v_pk_mul_f32 v[6:7], v[102:103], v[102:103]                // 0000000090CC: D3B14006 1802CD66
	v_pk_fma_f32 v[4:5], v[4:5], s[78:79], v[8:9]              // 0000000090D4: D3B04004 1C209D04
	v_pk_fma_f32 v[6:7], v[6:7], s[78:79], v[8:9]              // 0000000090DC: D3B04006 1C209D06
	v_pk_mul_f32 v[4:5], v[4:5], v[100:101]                    // 0000000090E4: D3B14004 1802C904
	v_pk_mul_f32 v[6:7], v[6:7], v[102:103]                    // 0000000090EC: D3B14006 1802CD06
	v_pk_mul_f32 v[4:5], v[4:5], s[60:61]                      // 0000000090F4: D3B14004 18007904
	v_pk_mul_f32 v[6:7], v[6:7], s[60:61]                      // 0000000090FC: D3B14006 18007906
	v_exp_f32_e32 v4, v4                                       // 000000009104: 7E084104
	v_exp_f32_e32 v5, v5                                       // 000000009108: 7E0A4105
	v_exp_f32_e32 v6, v6                                       // 00000000910C: 7E0C4106
	v_exp_f32_e32 v7, v7                                       // 000000009110: 7E0E4107
	v_add_f32_e64 v4, v4, 1.0                                  // 000000009114: D1010004 0001E504
	v_add_f32_e64 v5, v5, 1.0                                  // 00000000911C: D1010005 0001E505
	v_add_f32_e64 v6, v6, 1.0                                  // 000000009124: D1010006 0001E506
	v_add_f32_e64 v7, v7, 1.0                                  // 00000000912C: D1010007 0001E507
	v_rcp_f32_e32 v4, v4                                       // 000000009134: 7E084504
	v_rcp_f32_e32 v5, v5                                       // 000000009138: 7E0A4505
	v_rcp_f32_e32 v6, v6                                       // 00000000913C: 7E0C4506
	v_rcp_f32_e32 v7, v7                                       // 000000009140: 7E0E4507
	v_mul_f32_e32 v100, v100, v4                               // 000000009144: 0AC80964
	v_mul_f32_e32 v101, v101, v5                               // 000000009148: 0ACA0B65
	v_mul_f32_e32 v102, v102, v6                               // 00000000914C: 0ACC0D66
	v_mul_f32_e32 v103, v103, v7                               // 000000009150: 0ACE0F67
	v_mul_f32_e32 v100, v100, v164                             // 000000009154: 0AC94964
	v_mul_f32_e32 v101, v101, v165                             // 000000009158: 0ACB4B65
	v_mul_f32_e32 v102, v102, v166                             // 00000000915C: 0ACD4D66
	v_mul_f32_e32 v103, v103, v167                             // 000000009160: 0ACF4F67
	v_pk_mul_f32 v[4:5], v[104:105], v[104:105]                // 000000009164: D3B14004 1802D168
	v_pk_mul_f32 v[6:7], v[106:107], v[106:107]                // 00000000916C: D3B14006 1802D56A
	v_pk_fma_f32 v[4:5], v[4:5], s[78:79], v[8:9]              // 000000009174: D3B04004 1C209D04
	v_pk_fma_f32 v[6:7], v[6:7], s[78:79], v[8:9]              // 00000000917C: D3B04006 1C209D06
	v_pk_mul_f32 v[4:5], v[4:5], v[104:105]                    // 000000009184: D3B14004 1802D104
	v_pk_mul_f32 v[6:7], v[6:7], v[106:107]                    // 00000000918C: D3B14006 1802D506
	v_pk_mul_f32 v[4:5], v[4:5], s[60:61]                      // 000000009194: D3B14004 18007904
	v_pk_mul_f32 v[6:7], v[6:7], s[60:61]                      // 00000000919C: D3B14006 18007906
	v_exp_f32_e32 v4, v4                                       // 0000000091A4: 7E084104
	v_exp_f32_e32 v5, v5                                       // 0000000091A8: 7E0A4105
	v_exp_f32_e32 v6, v6                                       // 0000000091AC: 7E0C4106
	v_exp_f32_e32 v7, v7                                       // 0000000091B0: 7E0E4107
	v_add_f32_e64 v4, v4, 1.0                                  // 0000000091B4: D1010004 0001E504
	v_add_f32_e64 v5, v5, 1.0                                  // 0000000091BC: D1010005 0001E505
	v_add_f32_e64 v6, v6, 1.0                                  // 0000000091C4: D1010006 0001E506
	v_add_f32_e64 v7, v7, 1.0                                  // 0000000091CC: D1010007 0001E507
	v_rcp_f32_e32 v4, v4                                       // 0000000091D4: 7E084504
	v_rcp_f32_e32 v5, v5                                       // 0000000091D8: 7E0A4505
	v_rcp_f32_e32 v6, v6                                       // 0000000091DC: 7E0C4506
	v_rcp_f32_e32 v7, v7                                       // 0000000091E0: 7E0E4507
	v_mul_f32_e32 v104, v104, v4                               // 0000000091E4: 0AD00968
	v_mul_f32_e32 v105, v105, v5                               // 0000000091E8: 0AD20B69
	v_mul_f32_e32 v106, v106, v6                               // 0000000091EC: 0AD40D6A
	v_mul_f32_e32 v107, v107, v7                               // 0000000091F0: 0AD60F6B
	v_mul_f32_e32 v104, v104, v168                             // 0000000091F4: 0AD15168
	v_mul_f32_e32 v105, v105, v169                             // 0000000091F8: 0AD35369
	v_mul_f32_e32 v106, v106, v170                             // 0000000091FC: 0AD5556A
	v_mul_f32_e32 v107, v107, v171                             // 000000009200: 0AD7576B
	v_pk_mul_f32 v[4:5], v[108:109], v[108:109]                // 000000009204: D3B14004 1802D96C
	v_pk_mul_f32 v[6:7], v[110:111], v[110:111]                // 00000000920C: D3B14006 1802DD6E
	v_pk_fma_f32 v[4:5], v[4:5], s[78:79], v[8:9]              // 000000009214: D3B04004 1C209D04
	v_pk_fma_f32 v[6:7], v[6:7], s[78:79], v[8:9]              // 00000000921C: D3B04006 1C209D06
	v_pk_mul_f32 v[4:5], v[4:5], v[108:109]                    // 000000009224: D3B14004 1802D904
	v_pk_mul_f32 v[6:7], v[6:7], v[110:111]                    // 00000000922C: D3B14006 1802DD06
	v_pk_mul_f32 v[4:5], v[4:5], s[60:61]                      // 000000009234: D3B14004 18007904
	v_pk_mul_f32 v[6:7], v[6:7], s[60:61]                      // 00000000923C: D3B14006 18007906
	v_exp_f32_e32 v4, v4                                       // 000000009244: 7E084104
	v_exp_f32_e32 v5, v5                                       // 000000009248: 7E0A4105
	v_exp_f32_e32 v6, v6                                       // 00000000924C: 7E0C4106
	v_exp_f32_e32 v7, v7                                       // 000000009250: 7E0E4107
	v_add_f32_e64 v4, v4, 1.0                                  // 000000009254: D1010004 0001E504
	v_add_f32_e64 v5, v5, 1.0                                  // 00000000925C: D1010005 0001E505
	v_add_f32_e64 v6, v6, 1.0                                  // 000000009264: D1010006 0001E506
	v_add_f32_e64 v7, v7, 1.0                                  // 00000000926C: D1010007 0001E507
	v_rcp_f32_e32 v4, v4                                       // 000000009274: 7E084504
	v_rcp_f32_e32 v5, v5                                       // 000000009278: 7E0A4505
	v_rcp_f32_e32 v6, v6                                       // 00000000927C: 7E0C4506
	v_rcp_f32_e32 v7, v7                                       // 000000009280: 7E0E4507
	v_mul_f32_e32 v108, v108, v4                               // 000000009284: 0AD8096C
	v_mul_f32_e32 v109, v109, v5                               // 000000009288: 0ADA0B6D
	v_mul_f32_e32 v110, v110, v6                               // 00000000928C: 0ADC0D6E
	v_mul_f32_e32 v111, v111, v7                               // 000000009290: 0ADE0F6F
	v_mul_f32_e32 v108, v108, v172                             // 000000009294: 0AD9596C
	v_mul_f32_e32 v109, v109, v173                             // 000000009298: 0ADB5B6D
	v_mul_f32_e32 v110, v110, v174                             // 00000000929C: 0ADD5D6E
	v_mul_f32_e32 v111, v111, v175                             // 0000000092A0: 0ADF5F6F
	v_pk_mul_f32 v[4:5], v[112:113], v[112:113]                // 0000000092A4: D3B14004 1802E170
	v_pk_mul_f32 v[6:7], v[114:115], v[114:115]                // 0000000092AC: D3B14006 1802E572
	v_pk_fma_f32 v[4:5], v[4:5], s[78:79], v[8:9]              // 0000000092B4: D3B04004 1C209D04
	v_pk_fma_f32 v[6:7], v[6:7], s[78:79], v[8:9]              // 0000000092BC: D3B04006 1C209D06
	v_pk_mul_f32 v[4:5], v[4:5], v[112:113]                    // 0000000092C4: D3B14004 1802E104
	v_pk_mul_f32 v[6:7], v[6:7], v[114:115]                    // 0000000092CC: D3B14006 1802E506
	v_pk_mul_f32 v[4:5], v[4:5], s[60:61]                      // 0000000092D4: D3B14004 18007904
	v_pk_mul_f32 v[6:7], v[6:7], s[60:61]                      // 0000000092DC: D3B14006 18007906
	v_exp_f32_e32 v4, v4                                       // 0000000092E4: 7E084104
	v_exp_f32_e32 v5, v5                                       // 0000000092E8: 7E0A4105
	v_exp_f32_e32 v6, v6                                       // 0000000092EC: 7E0C4106
	v_exp_f32_e32 v7, v7                                       // 0000000092F0: 7E0E4107
	v_add_f32_e64 v4, v4, 1.0                                  // 0000000092F4: D1010004 0001E504
	v_add_f32_e64 v5, v5, 1.0                                  // 0000000092FC: D1010005 0001E505
	v_add_f32_e64 v6, v6, 1.0                                  // 000000009304: D1010006 0001E506
	v_add_f32_e64 v7, v7, 1.0                                  // 00000000930C: D1010007 0001E507
	v_rcp_f32_e32 v4, v4                                       // 000000009314: 7E084504
	v_rcp_f32_e32 v5, v5                                       // 000000009318: 7E0A4505
	v_rcp_f32_e32 v6, v6                                       // 00000000931C: 7E0C4506
	v_rcp_f32_e32 v7, v7                                       // 000000009320: 7E0E4507
	v_mul_f32_e32 v112, v112, v4                               // 000000009324: 0AE00970
	v_mul_f32_e32 v113, v113, v5                               // 000000009328: 0AE20B71
	v_mul_f32_e32 v114, v114, v6                               // 00000000932C: 0AE40D72
	v_mul_f32_e32 v115, v115, v7                               // 000000009330: 0AE60F73
	v_mul_f32_e32 v112, v112, v176                             // 000000009334: 0AE16170
	v_mul_f32_e32 v113, v113, v177                             // 000000009338: 0AE36371
	v_mul_f32_e32 v114, v114, v178                             // 00000000933C: 0AE56572
	v_mul_f32_e32 v115, v115, v179                             // 000000009340: 0AE76773
	s_branch label_1C55                                        // 000000009344: BF820200

0000000000009348 <label_1A55>:
	v_mul_f32_e64 v4, -v52, s6                                 // 000000009348: D1050004 20000D34
	v_mul_f32_e64 v5, -v53, s6                                 // 000000009350: D1050005 20000D35
	v_mul_f32_e64 v6, -v54, s6                                 // 000000009358: D1050006 20000D36
	v_mul_f32_e64 v7, -v55, s6                                 // 000000009360: D1050007 20000D37
	v_exp_f32_e32 v4, v4                                       // 000000009368: 7E084104
	v_exp_f32_e32 v5, v5                                       // 00000000936C: 7E0A4105
	v_exp_f32_e32 v6, v6                                       // 000000009370: 7E0C4106
	v_exp_f32_e32 v7, v7                                       // 000000009374: 7E0E4107
	v_add_f32_e64 v4, v4, 1.0                                  // 000000009378: D1010004 0001E504
	v_add_f32_e64 v5, v5, 1.0                                  // 000000009380: D1010005 0001E505
	v_add_f32_e64 v6, v6, 1.0                                  // 000000009388: D1010006 0001E506
	v_add_f32_e64 v7, v7, 1.0                                  // 000000009390: D1010007 0001E507
	v_rcp_f32_e32 v4, v4                                       // 000000009398: 7E084504
	v_rcp_f32_e32 v5, v5                                       // 00000000939C: 7E0A4505
	v_rcp_f32_e32 v6, v6                                       // 0000000093A0: 7E0C4506
	v_rcp_f32_e32 v7, v7                                       // 0000000093A4: 7E0E4507
	v_mul_f32_e32 v52, v52, v4                                 // 0000000093A8: 0A680934
	v_mul_f32_e32 v53, v53, v5                                 // 0000000093AC: 0A6A0B35
	v_mul_f32_e32 v54, v54, v6                                 // 0000000093B0: 0A6C0D36
	v_mul_f32_e32 v55, v55, v7                                 // 0000000093B4: 0A6E0F37
	v_mul_f32_e32 v52, v52, v116                               // 0000000093B8: 0A68E934
	v_mul_f32_e32 v53, v53, v117                               // 0000000093BC: 0A6AEB35
	v_mul_f32_e32 v54, v54, v118                               // 0000000093C0: 0A6CED36
	v_mul_f32_e32 v55, v55, v119                               // 0000000093C4: 0A6EEF37
	v_mul_f32_e64 v4, -v56, s6                                 // 0000000093C8: D1050004 20000D38
	v_mul_f32_e64 v5, -v57, s6                                 // 0000000093D0: D1050005 20000D39
	v_mul_f32_e64 v6, -v58, s6                                 // 0000000093D8: D1050006 20000D3A
	v_mul_f32_e64 v7, -v59, s6                                 // 0000000093E0: D1050007 20000D3B
	v_exp_f32_e32 v4, v4                                       // 0000000093E8: 7E084104
	v_exp_f32_e32 v5, v5                                       // 0000000093EC: 7E0A4105
	v_exp_f32_e32 v6, v6                                       // 0000000093F0: 7E0C4106
	v_exp_f32_e32 v7, v7                                       // 0000000093F4: 7E0E4107
	v_add_f32_e64 v4, v4, 1.0                                  // 0000000093F8: D1010004 0001E504
	v_add_f32_e64 v5, v5, 1.0                                  // 000000009400: D1010005 0001E505
	v_add_f32_e64 v6, v6, 1.0                                  // 000000009408: D1010006 0001E506
	v_add_f32_e64 v7, v7, 1.0                                  // 000000009410: D1010007 0001E507
	v_rcp_f32_e32 v4, v4                                       // 000000009418: 7E084504
	v_rcp_f32_e32 v5, v5                                       // 00000000941C: 7E0A4505
	v_rcp_f32_e32 v6, v6                                       // 000000009420: 7E0C4506
	v_rcp_f32_e32 v7, v7                                       // 000000009424: 7E0E4507
	v_mul_f32_e32 v56, v56, v4                                 // 000000009428: 0A700938
	v_mul_f32_e32 v57, v57, v5                                 // 00000000942C: 0A720B39
	v_mul_f32_e32 v58, v58, v6                                 // 000000009430: 0A740D3A
	v_mul_f32_e32 v59, v59, v7                                 // 000000009434: 0A760F3B
	v_mul_f32_e32 v56, v56, v120                               // 000000009438: 0A70F138
	v_mul_f32_e32 v57, v57, v121                               // 00000000943C: 0A72F339
	v_mul_f32_e32 v58, v58, v122                               // 000000009440: 0A74F53A
	v_mul_f32_e32 v59, v59, v123                               // 000000009444: 0A76F73B
	v_mul_f32_e64 v4, -v60, s6                                 // 000000009448: D1050004 20000D3C
	v_mul_f32_e64 v5, -v61, s6                                 // 000000009450: D1050005 20000D3D
	v_mul_f32_e64 v6, -v62, s6                                 // 000000009458: D1050006 20000D3E
	v_mul_f32_e64 v7, -v63, s6                                 // 000000009460: D1050007 20000D3F
	v_exp_f32_e32 v4, v4                                       // 000000009468: 7E084104
	v_exp_f32_e32 v5, v5                                       // 00000000946C: 7E0A4105
	v_exp_f32_e32 v6, v6                                       // 000000009470: 7E0C4106
	v_exp_f32_e32 v7, v7                                       // 000000009474: 7E0E4107
	v_add_f32_e64 v4, v4, 1.0                                  // 000000009478: D1010004 0001E504
	v_add_f32_e64 v5, v5, 1.0                                  // 000000009480: D1010005 0001E505
	v_add_f32_e64 v6, v6, 1.0                                  // 000000009488: D1010006 0001E506
	v_add_f32_e64 v7, v7, 1.0                                  // 000000009490: D1010007 0001E507
	v_rcp_f32_e32 v4, v4                                       // 000000009498: 7E084504
	v_rcp_f32_e32 v5, v5                                       // 00000000949C: 7E0A4505
	v_rcp_f32_e32 v6, v6                                       // 0000000094A0: 7E0C4506
	v_rcp_f32_e32 v7, v7                                       // 0000000094A4: 7E0E4507
	v_mul_f32_e32 v60, v60, v4                                 // 0000000094A8: 0A78093C
	v_mul_f32_e32 v61, v61, v5                                 // 0000000094AC: 0A7A0B3D
	v_mul_f32_e32 v62, v62, v6                                 // 0000000094B0: 0A7C0D3E
	v_mul_f32_e32 v63, v63, v7                                 // 0000000094B4: 0A7E0F3F
	v_mul_f32_e32 v60, v60, v124                               // 0000000094B8: 0A78F93C
	v_mul_f32_e32 v61, v61, v125                               // 0000000094BC: 0A7AFB3D
	v_mul_f32_e32 v62, v62, v126                               // 0000000094C0: 0A7CFD3E
	v_mul_f32_e32 v63, v63, v127                               // 0000000094C4: 0A7EFF3F
	v_mul_f32_e64 v4, -v64, s6                                 // 0000000094C8: D1050004 20000D40
	v_mul_f32_e64 v5, -v65, s6                                 // 0000000094D0: D1050005 20000D41
	v_mul_f32_e64 v6, -v66, s6                                 // 0000000094D8: D1050006 20000D42
	v_mul_f32_e64 v7, -v67, s6                                 // 0000000094E0: D1050007 20000D43
	v_exp_f32_e32 v4, v4                                       // 0000000094E8: 7E084104
	v_exp_f32_e32 v5, v5                                       // 0000000094EC: 7E0A4105
	v_exp_f32_e32 v6, v6                                       // 0000000094F0: 7E0C4106
	v_exp_f32_e32 v7, v7                                       // 0000000094F4: 7E0E4107
	v_add_f32_e64 v4, v4, 1.0                                  // 0000000094F8: D1010004 0001E504
	v_add_f32_e64 v5, v5, 1.0                                  // 000000009500: D1010005 0001E505
	v_add_f32_e64 v6, v6, 1.0                                  // 000000009508: D1010006 0001E506
	v_add_f32_e64 v7, v7, 1.0                                  // 000000009510: D1010007 0001E507
	v_rcp_f32_e32 v4, v4                                       // 000000009518: 7E084504
	v_rcp_f32_e32 v5, v5                                       // 00000000951C: 7E0A4505
	v_rcp_f32_e32 v6, v6                                       // 000000009520: 7E0C4506
	v_rcp_f32_e32 v7, v7                                       // 000000009524: 7E0E4507
	v_mul_f32_e32 v64, v64, v4                                 // 000000009528: 0A800940
	v_mul_f32_e32 v65, v65, v5                                 // 00000000952C: 0A820B41
	v_mul_f32_e32 v66, v66, v6                                 // 000000009530: 0A840D42
	v_mul_f32_e32 v67, v67, v7                                 // 000000009534: 0A860F43
	v_mul_f32_e32 v64, v64, v128                               // 000000009538: 0A810140
	v_mul_f32_e32 v65, v65, v129                               // 00000000953C: 0A830341
	v_mul_f32_e32 v66, v66, v130                               // 000000009540: 0A850542
	v_mul_f32_e32 v67, v67, v131                               // 000000009544: 0A870743
	v_mul_f32_e64 v4, -v68, s6                                 // 000000009548: D1050004 20000D44
	v_mul_f32_e64 v5, -v69, s6                                 // 000000009550: D1050005 20000D45
	v_mul_f32_e64 v6, -v70, s6                                 // 000000009558: D1050006 20000D46
	v_mul_f32_e64 v7, -v71, s6                                 // 000000009560: D1050007 20000D47
	v_exp_f32_e32 v4, v4                                       // 000000009568: 7E084104
	v_exp_f32_e32 v5, v5                                       // 00000000956C: 7E0A4105
	v_exp_f32_e32 v6, v6                                       // 000000009570: 7E0C4106
	v_exp_f32_e32 v7, v7                                       // 000000009574: 7E0E4107
	v_add_f32_e64 v4, v4, 1.0                                  // 000000009578: D1010004 0001E504
	v_add_f32_e64 v5, v5, 1.0                                  // 000000009580: D1010005 0001E505
	v_add_f32_e64 v6, v6, 1.0                                  // 000000009588: D1010006 0001E506
	v_add_f32_e64 v7, v7, 1.0                                  // 000000009590: D1010007 0001E507
	v_rcp_f32_e32 v4, v4                                       // 000000009598: 7E084504
	v_rcp_f32_e32 v5, v5                                       // 00000000959C: 7E0A4505
	v_rcp_f32_e32 v6, v6                                       // 0000000095A0: 7E0C4506
	v_rcp_f32_e32 v7, v7                                       // 0000000095A4: 7E0E4507
	v_mul_f32_e32 v68, v68, v4                                 // 0000000095A8: 0A880944
	v_mul_f32_e32 v69, v69, v5                                 // 0000000095AC: 0A8A0B45
	v_mul_f32_e32 v70, v70, v6                                 // 0000000095B0: 0A8C0D46
	v_mul_f32_e32 v71, v71, v7                                 // 0000000095B4: 0A8E0F47
	v_mul_f32_e32 v68, v68, v132                               // 0000000095B8: 0A890944
	v_mul_f32_e32 v69, v69, v133                               // 0000000095BC: 0A8B0B45
	v_mul_f32_e32 v70, v70, v134                               // 0000000095C0: 0A8D0D46
	v_mul_f32_e32 v71, v71, v135                               // 0000000095C4: 0A8F0F47
	v_mul_f32_e64 v4, -v72, s6                                 // 0000000095C8: D1050004 20000D48
	v_mul_f32_e64 v5, -v73, s6                                 // 0000000095D0: D1050005 20000D49
	v_mul_f32_e64 v6, -v74, s6                                 // 0000000095D8: D1050006 20000D4A
	v_mul_f32_e64 v7, -v75, s6                                 // 0000000095E0: D1050007 20000D4B
	v_exp_f32_e32 v4, v4                                       // 0000000095E8: 7E084104
	v_exp_f32_e32 v5, v5                                       // 0000000095EC: 7E0A4105
	v_exp_f32_e32 v6, v6                                       // 0000000095F0: 7E0C4106
	v_exp_f32_e32 v7, v7                                       // 0000000095F4: 7E0E4107
	v_add_f32_e64 v4, v4, 1.0                                  // 0000000095F8: D1010004 0001E504
	v_add_f32_e64 v5, v5, 1.0                                  // 000000009600: D1010005 0001E505
	v_add_f32_e64 v6, v6, 1.0                                  // 000000009608: D1010006 0001E506
	v_add_f32_e64 v7, v7, 1.0                                  // 000000009610: D1010007 0001E507
	v_rcp_f32_e32 v4, v4                                       // 000000009618: 7E084504
	v_rcp_f32_e32 v5, v5                                       // 00000000961C: 7E0A4505
	v_rcp_f32_e32 v6, v6                                       // 000000009620: 7E0C4506
	v_rcp_f32_e32 v7, v7                                       // 000000009624: 7E0E4507
	v_mul_f32_e32 v72, v72, v4                                 // 000000009628: 0A900948
	v_mul_f32_e32 v73, v73, v5                                 // 00000000962C: 0A920B49
	v_mul_f32_e32 v74, v74, v6                                 // 000000009630: 0A940D4A
	v_mul_f32_e32 v75, v75, v7                                 // 000000009634: 0A960F4B
	v_mul_f32_e32 v72, v72, v136                               // 000000009638: 0A911148
	v_mul_f32_e32 v73, v73, v137                               // 00000000963C: 0A931349
	v_mul_f32_e32 v74, v74, v138                               // 000000009640: 0A95154A
	v_mul_f32_e32 v75, v75, v139                               // 000000009644: 0A97174B
	v_mul_f32_e64 v4, -v76, s6                                 // 000000009648: D1050004 20000D4C
	v_mul_f32_e64 v5, -v77, s6                                 // 000000009650: D1050005 20000D4D
	v_mul_f32_e64 v6, -v78, s6                                 // 000000009658: D1050006 20000D4E
	v_mul_f32_e64 v7, -v79, s6                                 // 000000009660: D1050007 20000D4F
	v_exp_f32_e32 v4, v4                                       // 000000009668: 7E084104
	v_exp_f32_e32 v5, v5                                       // 00000000966C: 7E0A4105
	v_exp_f32_e32 v6, v6                                       // 000000009670: 7E0C4106
	v_exp_f32_e32 v7, v7                                       // 000000009674: 7E0E4107
	v_add_f32_e64 v4, v4, 1.0                                  // 000000009678: D1010004 0001E504
	v_add_f32_e64 v5, v5, 1.0                                  // 000000009680: D1010005 0001E505
	v_add_f32_e64 v6, v6, 1.0                                  // 000000009688: D1010006 0001E506
	v_add_f32_e64 v7, v7, 1.0                                  // 000000009690: D1010007 0001E507
	v_rcp_f32_e32 v4, v4                                       // 000000009698: 7E084504
	v_rcp_f32_e32 v5, v5                                       // 00000000969C: 7E0A4505
	v_rcp_f32_e32 v6, v6                                       // 0000000096A0: 7E0C4506
	v_rcp_f32_e32 v7, v7                                       // 0000000096A4: 7E0E4507
	v_mul_f32_e32 v76, v76, v4                                 // 0000000096A8: 0A98094C
	v_mul_f32_e32 v77, v77, v5                                 // 0000000096AC: 0A9A0B4D
	v_mul_f32_e32 v78, v78, v6                                 // 0000000096B0: 0A9C0D4E
	v_mul_f32_e32 v79, v79, v7                                 // 0000000096B4: 0A9E0F4F
	v_mul_f32_e32 v76, v76, v140                               // 0000000096B8: 0A99194C
	v_mul_f32_e32 v77, v77, v141                               // 0000000096BC: 0A9B1B4D
	v_mul_f32_e32 v78, v78, v142                               // 0000000096C0: 0A9D1D4E
	v_mul_f32_e32 v79, v79, v143                               // 0000000096C4: 0A9F1F4F
	v_mul_f32_e64 v4, -v80, s6                                 // 0000000096C8: D1050004 20000D50
	v_mul_f32_e64 v5, -v81, s6                                 // 0000000096D0: D1050005 20000D51
	v_mul_f32_e64 v6, -v82, s6                                 // 0000000096D8: D1050006 20000D52
	v_mul_f32_e64 v7, -v83, s6                                 // 0000000096E0: D1050007 20000D53
	v_exp_f32_e32 v4, v4                                       // 0000000096E8: 7E084104
	v_exp_f32_e32 v5, v5                                       // 0000000096EC: 7E0A4105
	v_exp_f32_e32 v6, v6                                       // 0000000096F0: 7E0C4106
	v_exp_f32_e32 v7, v7                                       // 0000000096F4: 7E0E4107
	v_add_f32_e64 v4, v4, 1.0                                  // 0000000096F8: D1010004 0001E504
	v_add_f32_e64 v5, v5, 1.0                                  // 000000009700: D1010005 0001E505
	v_add_f32_e64 v6, v6, 1.0                                  // 000000009708: D1010006 0001E506
	v_add_f32_e64 v7, v7, 1.0                                  // 000000009710: D1010007 0001E507
	v_rcp_f32_e32 v4, v4                                       // 000000009718: 7E084504
	v_rcp_f32_e32 v5, v5                                       // 00000000971C: 7E0A4505
	v_rcp_f32_e32 v6, v6                                       // 000000009720: 7E0C4506
	v_rcp_f32_e32 v7, v7                                       // 000000009724: 7E0E4507
	v_mul_f32_e32 v80, v80, v4                                 // 000000009728: 0AA00950
	v_mul_f32_e32 v81, v81, v5                                 // 00000000972C: 0AA20B51
	v_mul_f32_e32 v82, v82, v6                                 // 000000009730: 0AA40D52
	v_mul_f32_e32 v83, v83, v7                                 // 000000009734: 0AA60F53
	v_mul_f32_e32 v80, v80, v144                               // 000000009738: 0AA12150
	v_mul_f32_e32 v81, v81, v145                               // 00000000973C: 0AA32351
	v_mul_f32_e32 v82, v82, v146                               // 000000009740: 0AA52552
	v_mul_f32_e32 v83, v83, v147                               // 000000009744: 0AA72753
	v_mul_f32_e64 v4, -v84, s6                                 // 000000009748: D1050004 20000D54
	v_mul_f32_e64 v5, -v85, s6                                 // 000000009750: D1050005 20000D55
	v_mul_f32_e64 v6, -v86, s6                                 // 000000009758: D1050006 20000D56
	v_mul_f32_e64 v7, -v87, s6                                 // 000000009760: D1050007 20000D57
	v_exp_f32_e32 v4, v4                                       // 000000009768: 7E084104
	v_exp_f32_e32 v5, v5                                       // 00000000976C: 7E0A4105
	v_exp_f32_e32 v6, v6                                       // 000000009770: 7E0C4106
	v_exp_f32_e32 v7, v7                                       // 000000009774: 7E0E4107
	v_add_f32_e64 v4, v4, 1.0                                  // 000000009778: D1010004 0001E504
	v_add_f32_e64 v5, v5, 1.0                                  // 000000009780: D1010005 0001E505
	v_add_f32_e64 v6, v6, 1.0                                  // 000000009788: D1010006 0001E506
	v_add_f32_e64 v7, v7, 1.0                                  // 000000009790: D1010007 0001E507
	v_rcp_f32_e32 v4, v4                                       // 000000009798: 7E084504
	v_rcp_f32_e32 v5, v5                                       // 00000000979C: 7E0A4505
	v_rcp_f32_e32 v6, v6                                       // 0000000097A0: 7E0C4506
	v_rcp_f32_e32 v7, v7                                       // 0000000097A4: 7E0E4507
	v_mul_f32_e32 v84, v84, v4                                 // 0000000097A8: 0AA80954
	v_mul_f32_e32 v85, v85, v5                                 // 0000000097AC: 0AAA0B55
	v_mul_f32_e32 v86, v86, v6                                 // 0000000097B0: 0AAC0D56
	v_mul_f32_e32 v87, v87, v7                                 // 0000000097B4: 0AAE0F57
	v_mul_f32_e32 v84, v84, v148                               // 0000000097B8: 0AA92954
	v_mul_f32_e32 v85, v85, v149                               // 0000000097BC: 0AAB2B55
	v_mul_f32_e32 v86, v86, v150                               // 0000000097C0: 0AAD2D56
	v_mul_f32_e32 v87, v87, v151                               // 0000000097C4: 0AAF2F57
	v_mul_f32_e64 v4, -v88, s6                                 // 0000000097C8: D1050004 20000D58
	v_mul_f32_e64 v5, -v89, s6                                 // 0000000097D0: D1050005 20000D59
	v_mul_f32_e64 v6, -v90, s6                                 // 0000000097D8: D1050006 20000D5A
	v_mul_f32_e64 v7, -v91, s6                                 // 0000000097E0: D1050007 20000D5B
	v_exp_f32_e32 v4, v4                                       // 0000000097E8: 7E084104
	v_exp_f32_e32 v5, v5                                       // 0000000097EC: 7E0A4105
	v_exp_f32_e32 v6, v6                                       // 0000000097F0: 7E0C4106
	v_exp_f32_e32 v7, v7                                       // 0000000097F4: 7E0E4107
	v_add_f32_e64 v4, v4, 1.0                                  // 0000000097F8: D1010004 0001E504
	v_add_f32_e64 v5, v5, 1.0                                  // 000000009800: D1010005 0001E505
	v_add_f32_e64 v6, v6, 1.0                                  // 000000009808: D1010006 0001E506
	v_add_f32_e64 v7, v7, 1.0                                  // 000000009810: D1010007 0001E507
	v_rcp_f32_e32 v4, v4                                       // 000000009818: 7E084504
	v_rcp_f32_e32 v5, v5                                       // 00000000981C: 7E0A4505
	v_rcp_f32_e32 v6, v6                                       // 000000009820: 7E0C4506
	v_rcp_f32_e32 v7, v7                                       // 000000009824: 7E0E4507
	v_mul_f32_e32 v88, v88, v4                                 // 000000009828: 0AB00958
	v_mul_f32_e32 v89, v89, v5                                 // 00000000982C: 0AB20B59
	v_mul_f32_e32 v90, v90, v6                                 // 000000009830: 0AB40D5A
	v_mul_f32_e32 v91, v91, v7                                 // 000000009834: 0AB60F5B
	v_mul_f32_e32 v88, v88, v152                               // 000000009838: 0AB13158
	v_mul_f32_e32 v89, v89, v153                               // 00000000983C: 0AB33359
	v_mul_f32_e32 v90, v90, v154                               // 000000009840: 0AB5355A
	v_mul_f32_e32 v91, v91, v155                               // 000000009844: 0AB7375B
	v_mul_f32_e64 v4, -v92, s6                                 // 000000009848: D1050004 20000D5C
	v_mul_f32_e64 v5, -v93, s6                                 // 000000009850: D1050005 20000D5D
	v_mul_f32_e64 v6, -v94, s6                                 // 000000009858: D1050006 20000D5E
	v_mul_f32_e64 v7, -v95, s6                                 // 000000009860: D1050007 20000D5F
	v_exp_f32_e32 v4, v4                                       // 000000009868: 7E084104
	v_exp_f32_e32 v5, v5                                       // 00000000986C: 7E0A4105
	v_exp_f32_e32 v6, v6                                       // 000000009870: 7E0C4106
	v_exp_f32_e32 v7, v7                                       // 000000009874: 7E0E4107
	v_add_f32_e64 v4, v4, 1.0                                  // 000000009878: D1010004 0001E504
	v_add_f32_e64 v5, v5, 1.0                                  // 000000009880: D1010005 0001E505
	v_add_f32_e64 v6, v6, 1.0                                  // 000000009888: D1010006 0001E506
	v_add_f32_e64 v7, v7, 1.0                                  // 000000009890: D1010007 0001E507
	v_rcp_f32_e32 v4, v4                                       // 000000009898: 7E084504
	v_rcp_f32_e32 v5, v5                                       // 00000000989C: 7E0A4505
	v_rcp_f32_e32 v6, v6                                       // 0000000098A0: 7E0C4506
	v_rcp_f32_e32 v7, v7                                       // 0000000098A4: 7E0E4507
	v_mul_f32_e32 v92, v92, v4                                 // 0000000098A8: 0AB8095C
	v_mul_f32_e32 v93, v93, v5                                 // 0000000098AC: 0ABA0B5D
	v_mul_f32_e32 v94, v94, v6                                 // 0000000098B0: 0ABC0D5E
	v_mul_f32_e32 v95, v95, v7                                 // 0000000098B4: 0ABE0F5F
	v_mul_f32_e32 v92, v92, v156                               // 0000000098B8: 0AB9395C
	v_mul_f32_e32 v93, v93, v157                               // 0000000098BC: 0ABB3B5D
	v_mul_f32_e32 v94, v94, v158                               // 0000000098C0: 0ABD3D5E
	v_mul_f32_e32 v95, v95, v159                               // 0000000098C4: 0ABF3F5F
	v_mul_f32_e64 v4, -v96, s6                                 // 0000000098C8: D1050004 20000D60
	v_mul_f32_e64 v5, -v97, s6                                 // 0000000098D0: D1050005 20000D61
	v_mul_f32_e64 v6, -v98, s6                                 // 0000000098D8: D1050006 20000D62
	v_mul_f32_e64 v7, -v99, s6                                 // 0000000098E0: D1050007 20000D63
	v_exp_f32_e32 v4, v4                                       // 0000000098E8: 7E084104
	v_exp_f32_e32 v5, v5                                       // 0000000098EC: 7E0A4105
	v_exp_f32_e32 v6, v6                                       // 0000000098F0: 7E0C4106
	v_exp_f32_e32 v7, v7                                       // 0000000098F4: 7E0E4107
	v_add_f32_e64 v4, v4, 1.0                                  // 0000000098F8: D1010004 0001E504
	v_add_f32_e64 v5, v5, 1.0                                  // 000000009900: D1010005 0001E505
	v_add_f32_e64 v6, v6, 1.0                                  // 000000009908: D1010006 0001E506
	v_add_f32_e64 v7, v7, 1.0                                  // 000000009910: D1010007 0001E507
	v_rcp_f32_e32 v4, v4                                       // 000000009918: 7E084504
	v_rcp_f32_e32 v5, v5                                       // 00000000991C: 7E0A4505
	v_rcp_f32_e32 v6, v6                                       // 000000009920: 7E0C4506
	v_rcp_f32_e32 v7, v7                                       // 000000009924: 7E0E4507
	v_mul_f32_e32 v96, v96, v4                                 // 000000009928: 0AC00960
	v_mul_f32_e32 v97, v97, v5                                 // 00000000992C: 0AC20B61
	v_mul_f32_e32 v98, v98, v6                                 // 000000009930: 0AC40D62
	v_mul_f32_e32 v99, v99, v7                                 // 000000009934: 0AC60F63
	v_mul_f32_e32 v96, v96, v160                               // 000000009938: 0AC14160
	v_mul_f32_e32 v97, v97, v161                               // 00000000993C: 0AC34361
	v_mul_f32_e32 v98, v98, v162                               // 000000009940: 0AC54562
	v_mul_f32_e32 v99, v99, v163                               // 000000009944: 0AC74763
	v_mul_f32_e64 v4, -v100, s6                                // 000000009948: D1050004 20000D64
	v_mul_f32_e64 v5, -v101, s6                                // 000000009950: D1050005 20000D65
	v_mul_f32_e64 v6, -v102, s6                                // 000000009958: D1050006 20000D66
	v_mul_f32_e64 v7, -v103, s6                                // 000000009960: D1050007 20000D67
	v_exp_f32_e32 v4, v4                                       // 000000009968: 7E084104
	v_exp_f32_e32 v5, v5                                       // 00000000996C: 7E0A4105
	v_exp_f32_e32 v6, v6                                       // 000000009970: 7E0C4106
	v_exp_f32_e32 v7, v7                                       // 000000009974: 7E0E4107
	v_add_f32_e64 v4, v4, 1.0                                  // 000000009978: D1010004 0001E504
	v_add_f32_e64 v5, v5, 1.0                                  // 000000009980: D1010005 0001E505
	v_add_f32_e64 v6, v6, 1.0                                  // 000000009988: D1010006 0001E506
	v_add_f32_e64 v7, v7, 1.0                                  // 000000009990: D1010007 0001E507
	v_rcp_f32_e32 v4, v4                                       // 000000009998: 7E084504
	v_rcp_f32_e32 v5, v5                                       // 00000000999C: 7E0A4505
	v_rcp_f32_e32 v6, v6                                       // 0000000099A0: 7E0C4506
	v_rcp_f32_e32 v7, v7                                       // 0000000099A4: 7E0E4507
	v_mul_f32_e32 v100, v100, v4                               // 0000000099A8: 0AC80964
	v_mul_f32_e32 v101, v101, v5                               // 0000000099AC: 0ACA0B65
	v_mul_f32_e32 v102, v102, v6                               // 0000000099B0: 0ACC0D66
	v_mul_f32_e32 v103, v103, v7                               // 0000000099B4: 0ACE0F67
	v_mul_f32_e32 v100, v100, v164                             // 0000000099B8: 0AC94964
	v_mul_f32_e32 v101, v101, v165                             // 0000000099BC: 0ACB4B65
	v_mul_f32_e32 v102, v102, v166                             // 0000000099C0: 0ACD4D66
	v_mul_f32_e32 v103, v103, v167                             // 0000000099C4: 0ACF4F67
	v_mul_f32_e64 v4, -v104, s6                                // 0000000099C8: D1050004 20000D68
	v_mul_f32_e64 v5, -v105, s6                                // 0000000099D0: D1050005 20000D69
	v_mul_f32_e64 v6, -v106, s6                                // 0000000099D8: D1050006 20000D6A
	v_mul_f32_e64 v7, -v107, s6                                // 0000000099E0: D1050007 20000D6B
	v_exp_f32_e32 v4, v4                                       // 0000000099E8: 7E084104
	v_exp_f32_e32 v5, v5                                       // 0000000099EC: 7E0A4105
	v_exp_f32_e32 v6, v6                                       // 0000000099F0: 7E0C4106
	v_exp_f32_e32 v7, v7                                       // 0000000099F4: 7E0E4107
	v_add_f32_e64 v4, v4, 1.0                                  // 0000000099F8: D1010004 0001E504
	v_add_f32_e64 v5, v5, 1.0                                  // 000000009A00: D1010005 0001E505
	v_add_f32_e64 v6, v6, 1.0                                  // 000000009A08: D1010006 0001E506
	v_add_f32_e64 v7, v7, 1.0                                  // 000000009A10: D1010007 0001E507
	v_rcp_f32_e32 v4, v4                                       // 000000009A18: 7E084504
	v_rcp_f32_e32 v5, v5                                       // 000000009A1C: 7E0A4505
	v_rcp_f32_e32 v6, v6                                       // 000000009A20: 7E0C4506
	v_rcp_f32_e32 v7, v7                                       // 000000009A24: 7E0E4507
	v_mul_f32_e32 v104, v104, v4                               // 000000009A28: 0AD00968
	v_mul_f32_e32 v105, v105, v5                               // 000000009A2C: 0AD20B69
	v_mul_f32_e32 v106, v106, v6                               // 000000009A30: 0AD40D6A
	v_mul_f32_e32 v107, v107, v7                               // 000000009A34: 0AD60F6B
	v_mul_f32_e32 v104, v104, v168                             // 000000009A38: 0AD15168
	v_mul_f32_e32 v105, v105, v169                             // 000000009A3C: 0AD35369
	v_mul_f32_e32 v106, v106, v170                             // 000000009A40: 0AD5556A
	v_mul_f32_e32 v107, v107, v171                             // 000000009A44: 0AD7576B
	v_mul_f32_e64 v4, -v108, s6                                // 000000009A48: D1050004 20000D6C
	v_mul_f32_e64 v5, -v109, s6                                // 000000009A50: D1050005 20000D6D
	v_mul_f32_e64 v6, -v110, s6                                // 000000009A58: D1050006 20000D6E
	v_mul_f32_e64 v7, -v111, s6                                // 000000009A60: D1050007 20000D6F
	v_exp_f32_e32 v4, v4                                       // 000000009A68: 7E084104
	v_exp_f32_e32 v5, v5                                       // 000000009A6C: 7E0A4105
	v_exp_f32_e32 v6, v6                                       // 000000009A70: 7E0C4106
	v_exp_f32_e32 v7, v7                                       // 000000009A74: 7E0E4107
	v_add_f32_e64 v4, v4, 1.0                                  // 000000009A78: D1010004 0001E504
	v_add_f32_e64 v5, v5, 1.0                                  // 000000009A80: D1010005 0001E505
	v_add_f32_e64 v6, v6, 1.0                                  // 000000009A88: D1010006 0001E506
	v_add_f32_e64 v7, v7, 1.0                                  // 000000009A90: D1010007 0001E507
	v_rcp_f32_e32 v4, v4                                       // 000000009A98: 7E084504
	v_rcp_f32_e32 v5, v5                                       // 000000009A9C: 7E0A4505
	v_rcp_f32_e32 v6, v6                                       // 000000009AA0: 7E0C4506
	v_rcp_f32_e32 v7, v7                                       // 000000009AA4: 7E0E4507
	v_mul_f32_e32 v108, v108, v4                               // 000000009AA8: 0AD8096C
	v_mul_f32_e32 v109, v109, v5                               // 000000009AAC: 0ADA0B6D
	v_mul_f32_e32 v110, v110, v6                               // 000000009AB0: 0ADC0D6E
	v_mul_f32_e32 v111, v111, v7                               // 000000009AB4: 0ADE0F6F
	v_mul_f32_e32 v108, v108, v172                             // 000000009AB8: 0AD9596C
	v_mul_f32_e32 v109, v109, v173                             // 000000009ABC: 0ADB5B6D
	v_mul_f32_e32 v110, v110, v174                             // 000000009AC0: 0ADD5D6E
	v_mul_f32_e32 v111, v111, v175                             // 000000009AC4: 0ADF5F6F
	v_mul_f32_e64 v4, -v112, s6                                // 000000009AC8: D1050004 20000D70
	v_mul_f32_e64 v5, -v113, s6                                // 000000009AD0: D1050005 20000D71
	v_mul_f32_e64 v6, -v114, s6                                // 000000009AD8: D1050006 20000D72
	v_mul_f32_e64 v7, -v115, s6                                // 000000009AE0: D1050007 20000D73
	v_exp_f32_e32 v4, v4                                       // 000000009AE8: 7E084104
	v_exp_f32_e32 v5, v5                                       // 000000009AEC: 7E0A4105
	v_exp_f32_e32 v6, v6                                       // 000000009AF0: 7E0C4106
	v_exp_f32_e32 v7, v7                                       // 000000009AF4: 7E0E4107
	v_add_f32_e64 v4, v4, 1.0                                  // 000000009AF8: D1010004 0001E504
	v_add_f32_e64 v5, v5, 1.0                                  // 000000009B00: D1010005 0001E505
	v_add_f32_e64 v6, v6, 1.0                                  // 000000009B08: D1010006 0001E506
	v_add_f32_e64 v7, v7, 1.0                                  // 000000009B10: D1010007 0001E507
	v_rcp_f32_e32 v4, v4                                       // 000000009B18: 7E084504
	v_rcp_f32_e32 v5, v5                                       // 000000009B1C: 7E0A4505
	v_rcp_f32_e32 v6, v6                                       // 000000009B20: 7E0C4506
	v_rcp_f32_e32 v7, v7                                       // 000000009B24: 7E0E4507
	v_mul_f32_e32 v112, v112, v4                               // 000000009B28: 0AE00970
	v_mul_f32_e32 v113, v113, v5                               // 000000009B2C: 0AE20B71
	v_mul_f32_e32 v114, v114, v6                               // 000000009B30: 0AE40D72
	v_mul_f32_e32 v115, v115, v7                               // 000000009B34: 0AE60F73
	v_mul_f32_e32 v112, v112, v176                             // 000000009B38: 0AE16170
	v_mul_f32_e32 v113, v113, v177                             // 000000009B3C: 0AE36371
	v_mul_f32_e32 v114, v114, v178                             // 000000009B40: 0AE56572
	v_mul_f32_e32 v115, v115, v179                             // 000000009B44: 0AE76773

0000000000009b48 <label_1C55>:
	v_cmp_u_f32_e64 s[46:47], v52, v52                         // 000000009B48: D048002E 00026934
	v_add3_u32 v16, v52, v19, 1                                // 000000009B50: D1FF0010 02062734
	v_cndmask_b32_e64 v4, v16, v18, s[46:47]                   // 000000009B58: D1000004 00BA2510
	v_cmp_u_f32_e64 s[46:47], v53, v53                         // 000000009B60: D048002E 00026B35
	v_add3_u32 v16, v53, v19, 1                                // 000000009B68: D1FF0010 02062735
	v_cndmask_b32_e64 v5, v16, v18, s[46:47]                   // 000000009B70: D1000005 00BA2510
	v_perm_b32 v52, v5, v4, s52                                // 000000009B78: D1ED0034 00D20905
	v_cmp_u_f32_e64 s[46:47], v54, v54                         // 000000009B80: D048002E 00026D36
	v_add3_u32 v16, v54, v19, 1                                // 000000009B88: D1FF0010 02062736
	v_cndmask_b32_e64 v4, v16, v18, s[46:47]                   // 000000009B90: D1000004 00BA2510
	v_cmp_u_f32_e64 s[46:47], v55, v55                         // 000000009B98: D048002E 00026F37
	v_add3_u32 v16, v55, v19, 1                                // 000000009BA0: D1FF0010 02062737
	v_cndmask_b32_e64 v5, v16, v18, s[46:47]                   // 000000009BA8: D1000005 00BA2510
	v_perm_b32 v53, v5, v4, s52                                // 000000009BB0: D1ED0035 00D20905
	v_cmp_u_f32_e64 s[46:47], v56, v56                         // 000000009BB8: D048002E 00027138
	v_add3_u32 v16, v56, v19, 1                                // 000000009BC0: D1FF0010 02062738
	v_cndmask_b32_e64 v4, v16, v18, s[46:47]                   // 000000009BC8: D1000004 00BA2510
	v_cmp_u_f32_e64 s[46:47], v57, v57                         // 000000009BD0: D048002E 00027339
	v_add3_u32 v16, v57, v19, 1                                // 000000009BD8: D1FF0010 02062739
	v_cndmask_b32_e64 v5, v16, v18, s[46:47]                   // 000000009BE0: D1000005 00BA2510
	v_perm_b32 v54, v5, v4, s52                                // 000000009BE8: D1ED0036 00D20905
	v_cmp_u_f32_e64 s[46:47], v58, v58                         // 000000009BF0: D048002E 0002753A
	v_add3_u32 v16, v58, v19, 1                                // 000000009BF8: D1FF0010 0206273A
	v_cndmask_b32_e64 v4, v16, v18, s[46:47]                   // 000000009C00: D1000004 00BA2510
	v_cmp_u_f32_e64 s[46:47], v59, v59                         // 000000009C08: D048002E 0002773B
	v_add3_u32 v16, v59, v19, 1                                // 000000009C10: D1FF0010 0206273B
	v_cndmask_b32_e64 v5, v16, v18, s[46:47]                   // 000000009C18: D1000005 00BA2510
	v_perm_b32 v55, v5, v4, s52                                // 000000009C20: D1ED0037 00D20905
	v_cmp_u_f32_e64 s[46:47], v60, v60                         // 000000009C28: D048002E 0002793C
	v_add3_u32 v16, v60, v19, 1                                // 000000009C30: D1FF0010 0206273C
	v_cndmask_b32_e64 v4, v16, v18, s[46:47]                   // 000000009C38: D1000004 00BA2510
	v_cmp_u_f32_e64 s[46:47], v61, v61                         // 000000009C40: D048002E 00027B3D
	v_add3_u32 v16, v61, v19, 1                                // 000000009C48: D1FF0010 0206273D
	v_cndmask_b32_e64 v5, v16, v18, s[46:47]                   // 000000009C50: D1000005 00BA2510
	v_perm_b32 v56, v5, v4, s52                                // 000000009C58: D1ED0038 00D20905
	v_cmp_u_f32_e64 s[46:47], v62, v62                         // 000000009C60: D048002E 00027D3E
	v_add3_u32 v16, v62, v19, 1                                // 000000009C68: D1FF0010 0206273E
	v_cndmask_b32_e64 v4, v16, v18, s[46:47]                   // 000000009C70: D1000004 00BA2510
	v_cmp_u_f32_e64 s[46:47], v63, v63                         // 000000009C78: D048002E 00027F3F
	v_add3_u32 v16, v63, v19, 1                                // 000000009C80: D1FF0010 0206273F
	v_cndmask_b32_e64 v5, v16, v18, s[46:47]                   // 000000009C88: D1000005 00BA2510
	v_perm_b32 v57, v5, v4, s52                                // 000000009C90: D1ED0039 00D20905
	v_cmp_u_f32_e64 s[46:47], v64, v64                         // 000000009C98: D048002E 00028140
	v_add3_u32 v16, v64, v19, 1                                // 000000009CA0: D1FF0010 02062740
	v_cndmask_b32_e64 v4, v16, v18, s[46:47]                   // 000000009CA8: D1000004 00BA2510
	v_cmp_u_f32_e64 s[46:47], v65, v65                         // 000000009CB0: D048002E 00028341
	v_add3_u32 v16, v65, v19, 1                                // 000000009CB8: D1FF0010 02062741
	v_cndmask_b32_e64 v5, v16, v18, s[46:47]                   // 000000009CC0: D1000005 00BA2510
	v_perm_b32 v58, v5, v4, s52                                // 000000009CC8: D1ED003A 00D20905
	v_cmp_u_f32_e64 s[46:47], v66, v66                         // 000000009CD0: D048002E 00028542
	v_add3_u32 v16, v66, v19, 1                                // 000000009CD8: D1FF0010 02062742
	v_cndmask_b32_e64 v4, v16, v18, s[46:47]                   // 000000009CE0: D1000004 00BA2510
	v_cmp_u_f32_e64 s[46:47], v67, v67                         // 000000009CE8: D048002E 00028743
	v_add3_u32 v16, v67, v19, 1                                // 000000009CF0: D1FF0010 02062743
	v_cndmask_b32_e64 v5, v16, v18, s[46:47]                   // 000000009CF8: D1000005 00BA2510
	v_perm_b32 v59, v5, v4, s52                                // 000000009D00: D1ED003B 00D20905
	v_cmp_u_f32_e64 s[46:47], v68, v68                         // 000000009D08: D048002E 00028944
	v_add3_u32 v16, v68, v19, 1                                // 000000009D10: D1FF0010 02062744
	v_cndmask_b32_e64 v4, v16, v18, s[46:47]                   // 000000009D18: D1000004 00BA2510
	v_cmp_u_f32_e64 s[46:47], v69, v69                         // 000000009D20: D048002E 00028B45
	v_add3_u32 v16, v69, v19, 1                                // 000000009D28: D1FF0010 02062745
	v_cndmask_b32_e64 v5, v16, v18, s[46:47]                   // 000000009D30: D1000005 00BA2510
	v_perm_b32 v60, v5, v4, s52                                // 000000009D38: D1ED003C 00D20905
	v_cmp_u_f32_e64 s[46:47], v70, v70                         // 000000009D40: D048002E 00028D46
	v_add3_u32 v16, v70, v19, 1                                // 000000009D48: D1FF0010 02062746
	v_cndmask_b32_e64 v4, v16, v18, s[46:47]                   // 000000009D50: D1000004 00BA2510
	v_cmp_u_f32_e64 s[46:47], v71, v71                         // 000000009D58: D048002E 00028F47
	v_add3_u32 v16, v71, v19, 1                                // 000000009D60: D1FF0010 02062747
	v_cndmask_b32_e64 v5, v16, v18, s[46:47]                   // 000000009D68: D1000005 00BA2510
	v_perm_b32 v61, v5, v4, s52                                // 000000009D70: D1ED003D 00D20905
	v_cmp_u_f32_e64 s[46:47], v72, v72                         // 000000009D78: D048002E 00029148
	v_add3_u32 v16, v72, v19, 1                                // 000000009D80: D1FF0010 02062748
	v_cndmask_b32_e64 v4, v16, v18, s[46:47]                   // 000000009D88: D1000004 00BA2510
	v_cmp_u_f32_e64 s[46:47], v73, v73                         // 000000009D90: D048002E 00029349
	v_add3_u32 v16, v73, v19, 1                                // 000000009D98: D1FF0010 02062749
	v_cndmask_b32_e64 v5, v16, v18, s[46:47]                   // 000000009DA0: D1000005 00BA2510
	v_perm_b32 v62, v5, v4, s52                                // 000000009DA8: D1ED003E 00D20905
	v_cmp_u_f32_e64 s[46:47], v74, v74                         // 000000009DB0: D048002E 0002954A
	v_add3_u32 v16, v74, v19, 1                                // 000000009DB8: D1FF0010 0206274A
	v_cndmask_b32_e64 v4, v16, v18, s[46:47]                   // 000000009DC0: D1000004 00BA2510
	v_cmp_u_f32_e64 s[46:47], v75, v75                         // 000000009DC8: D048002E 0002974B
	v_add3_u32 v16, v75, v19, 1                                // 000000009DD0: D1FF0010 0206274B
	v_cndmask_b32_e64 v5, v16, v18, s[46:47]                   // 000000009DD8: D1000005 00BA2510
	v_perm_b32 v63, v5, v4, s52                                // 000000009DE0: D1ED003F 00D20905
	v_cmp_u_f32_e64 s[46:47], v76, v76                         // 000000009DE8: D048002E 0002994C
	v_add3_u32 v16, v76, v19, 1                                // 000000009DF0: D1FF0010 0206274C
	v_cndmask_b32_e64 v4, v16, v18, s[46:47]                   // 000000009DF8: D1000004 00BA2510
	v_cmp_u_f32_e64 s[46:47], v77, v77                         // 000000009E00: D048002E 00029B4D
	v_add3_u32 v16, v77, v19, 1                                // 000000009E08: D1FF0010 0206274D
	v_cndmask_b32_e64 v5, v16, v18, s[46:47]                   // 000000009E10: D1000005 00BA2510
	v_perm_b32 v64, v5, v4, s52                                // 000000009E18: D1ED0040 00D20905
	v_cmp_u_f32_e64 s[46:47], v78, v78                         // 000000009E20: D048002E 00029D4E
	v_add3_u32 v16, v78, v19, 1                                // 000000009E28: D1FF0010 0206274E
	v_cndmask_b32_e64 v4, v16, v18, s[46:47]                   // 000000009E30: D1000004 00BA2510
	v_cmp_u_f32_e64 s[46:47], v79, v79                         // 000000009E38: D048002E 00029F4F
	v_add3_u32 v16, v79, v19, 1                                // 000000009E40: D1FF0010 0206274F
	v_cndmask_b32_e64 v5, v16, v18, s[46:47]                   // 000000009E48: D1000005 00BA2510
	v_perm_b32 v65, v5, v4, s52                                // 000000009E50: D1ED0041 00D20905
	v_cmp_u_f32_e64 s[46:47], v80, v80                         // 000000009E58: D048002E 0002A150
	v_add3_u32 v16, v80, v19, 1                                // 000000009E60: D1FF0010 02062750
	v_cndmask_b32_e64 v4, v16, v18, s[46:47]                   // 000000009E68: D1000004 00BA2510
	v_cmp_u_f32_e64 s[46:47], v81, v81                         // 000000009E70: D048002E 0002A351
	v_add3_u32 v16, v81, v19, 1                                // 000000009E78: D1FF0010 02062751
	v_cndmask_b32_e64 v5, v16, v18, s[46:47]                   // 000000009E80: D1000005 00BA2510
	v_perm_b32 v66, v5, v4, s52                                // 000000009E88: D1ED0042 00D20905
	v_cmp_u_f32_e64 s[46:47], v82, v82                         // 000000009E90: D048002E 0002A552
	v_add3_u32 v16, v82, v19, 1                                // 000000009E98: D1FF0010 02062752
	v_cndmask_b32_e64 v4, v16, v18, s[46:47]                   // 000000009EA0: D1000004 00BA2510
	v_cmp_u_f32_e64 s[46:47], v83, v83                         // 000000009EA8: D048002E 0002A753
	v_add3_u32 v16, v83, v19, 1                                // 000000009EB0: D1FF0010 02062753
	v_cndmask_b32_e64 v5, v16, v18, s[46:47]                   // 000000009EB8: D1000005 00BA2510
	v_perm_b32 v67, v5, v4, s52                                // 000000009EC0: D1ED0043 00D20905
	v_cmp_u_f32_e64 s[46:47], v84, v84                         // 000000009EC8: D048002E 0002A954
	v_add3_u32 v16, v84, v19, 1                                // 000000009ED0: D1FF0010 02062754
	v_cndmask_b32_e64 v4, v16, v18, s[46:47]                   // 000000009ED8: D1000004 00BA2510
	v_cmp_u_f32_e64 s[46:47], v85, v85                         // 000000009EE0: D048002E 0002AB55
	v_add3_u32 v16, v85, v19, 1                                // 000000009EE8: D1FF0010 02062755
	v_cndmask_b32_e64 v5, v16, v18, s[46:47]                   // 000000009EF0: D1000005 00BA2510
	v_perm_b32 v68, v5, v4, s52                                // 000000009EF8: D1ED0044 00D20905
	v_cmp_u_f32_e64 s[46:47], v86, v86                         // 000000009F00: D048002E 0002AD56
	v_add3_u32 v16, v86, v19, 1                                // 000000009F08: D1FF0010 02062756
	v_cndmask_b32_e64 v4, v16, v18, s[46:47]                   // 000000009F10: D1000004 00BA2510
	v_cmp_u_f32_e64 s[46:47], v87, v87                         // 000000009F18: D048002E 0002AF57
	v_add3_u32 v16, v87, v19, 1                                // 000000009F20: D1FF0010 02062757
	v_cndmask_b32_e64 v5, v16, v18, s[46:47]                   // 000000009F28: D1000005 00BA2510
	v_perm_b32 v69, v5, v4, s52                                // 000000009F30: D1ED0045 00D20905
	v_cmp_u_f32_e64 s[46:47], v88, v88                         // 000000009F38: D048002E 0002B158
	v_add3_u32 v16, v88, v19, 1                                // 000000009F40: D1FF0010 02062758
	v_cndmask_b32_e64 v4, v16, v18, s[46:47]                   // 000000009F48: D1000004 00BA2510
	v_cmp_u_f32_e64 s[46:47], v89, v89                         // 000000009F50: D048002E 0002B359
	v_add3_u32 v16, v89, v19, 1                                // 000000009F58: D1FF0010 02062759
	v_cndmask_b32_e64 v5, v16, v18, s[46:47]                   // 000000009F60: D1000005 00BA2510
	v_perm_b32 v70, v5, v4, s52                                // 000000009F68: D1ED0046 00D20905
	v_cmp_u_f32_e64 s[46:47], v90, v90                         // 000000009F70: D048002E 0002B55A
	v_add3_u32 v16, v90, v19, 1                                // 000000009F78: D1FF0010 0206275A
	v_cndmask_b32_e64 v4, v16, v18, s[46:47]                   // 000000009F80: D1000004 00BA2510
	v_cmp_u_f32_e64 s[46:47], v91, v91                         // 000000009F88: D048002E 0002B75B
	v_add3_u32 v16, v91, v19, 1                                // 000000009F90: D1FF0010 0206275B
	v_cndmask_b32_e64 v5, v16, v18, s[46:47]                   // 000000009F98: D1000005 00BA2510
	v_perm_b32 v71, v5, v4, s52                                // 000000009FA0: D1ED0047 00D20905
	v_cmp_u_f32_e64 s[46:47], v92, v92                         // 000000009FA8: D048002E 0002B95C
	v_add3_u32 v16, v92, v19, 1                                // 000000009FB0: D1FF0010 0206275C
	v_cndmask_b32_e64 v4, v16, v18, s[46:47]                   // 000000009FB8: D1000004 00BA2510
	v_cmp_u_f32_e64 s[46:47], v93, v93                         // 000000009FC0: D048002E 0002BB5D
	v_add3_u32 v16, v93, v19, 1                                // 000000009FC8: D1FF0010 0206275D
	v_cndmask_b32_e64 v5, v16, v18, s[46:47]                   // 000000009FD0: D1000005 00BA2510
	v_perm_b32 v72, v5, v4, s52                                // 000000009FD8: D1ED0048 00D20905
	v_cmp_u_f32_e64 s[46:47], v94, v94                         // 000000009FE0: D048002E 0002BD5E
	v_add3_u32 v16, v94, v19, 1                                // 000000009FE8: D1FF0010 0206275E
	v_cndmask_b32_e64 v4, v16, v18, s[46:47]                   // 000000009FF0: D1000004 00BA2510
	v_cmp_u_f32_e64 s[46:47], v95, v95                         // 000000009FF8: D048002E 0002BF5F
	v_add3_u32 v16, v95, v19, 1                                // 00000000A000: D1FF0010 0206275F
	v_cndmask_b32_e64 v5, v16, v18, s[46:47]                   // 00000000A008: D1000005 00BA2510
	v_perm_b32 v73, v5, v4, s52                                // 00000000A010: D1ED0049 00D20905
	v_cmp_u_f32_e64 s[46:47], v96, v96                         // 00000000A018: D048002E 0002C160
	v_add3_u32 v16, v96, v19, 1                                // 00000000A020: D1FF0010 02062760
	v_cndmask_b32_e64 v4, v16, v18, s[46:47]                   // 00000000A028: D1000004 00BA2510
	v_cmp_u_f32_e64 s[46:47], v97, v97                         // 00000000A030: D048002E 0002C361
	v_add3_u32 v16, v97, v19, 1                                // 00000000A038: D1FF0010 02062761
	v_cndmask_b32_e64 v5, v16, v18, s[46:47]                   // 00000000A040: D1000005 00BA2510
	v_perm_b32 v74, v5, v4, s52                                // 00000000A048: D1ED004A 00D20905
	v_cmp_u_f32_e64 s[46:47], v98, v98                         // 00000000A050: D048002E 0002C562
	v_add3_u32 v16, v98, v19, 1                                // 00000000A058: D1FF0010 02062762
	v_cndmask_b32_e64 v4, v16, v18, s[46:47]                   // 00000000A060: D1000004 00BA2510
	v_cmp_u_f32_e64 s[46:47], v99, v99                         // 00000000A068: D048002E 0002C763
	v_add3_u32 v16, v99, v19, 1                                // 00000000A070: D1FF0010 02062763
	v_cndmask_b32_e64 v5, v16, v18, s[46:47]                   // 00000000A078: D1000005 00BA2510
	v_perm_b32 v75, v5, v4, s52                                // 00000000A080: D1ED004B 00D20905
	v_cmp_u_f32_e64 s[46:47], v100, v100                       // 00000000A088: D048002E 0002C964
	v_add3_u32 v16, v100, v19, 1                               // 00000000A090: D1FF0010 02062764
	v_cndmask_b32_e64 v4, v16, v18, s[46:47]                   // 00000000A098: D1000004 00BA2510
	v_cmp_u_f32_e64 s[46:47], v101, v101                       // 00000000A0A0: D048002E 0002CB65
	v_add3_u32 v16, v101, v19, 1                               // 00000000A0A8: D1FF0010 02062765
	v_cndmask_b32_e64 v5, v16, v18, s[46:47]                   // 00000000A0B0: D1000005 00BA2510
	v_perm_b32 v76, v5, v4, s52                                // 00000000A0B8: D1ED004C 00D20905
	v_cmp_u_f32_e64 s[46:47], v102, v102                       // 00000000A0C0: D048002E 0002CD66
	v_add3_u32 v16, v102, v19, 1                               // 00000000A0C8: D1FF0010 02062766
	v_cndmask_b32_e64 v4, v16, v18, s[46:47]                   // 00000000A0D0: D1000004 00BA2510
	v_cmp_u_f32_e64 s[46:47], v103, v103                       // 00000000A0D8: D048002E 0002CF67
	v_add3_u32 v16, v103, v19, 1                               // 00000000A0E0: D1FF0010 02062767
	v_cndmask_b32_e64 v5, v16, v18, s[46:47]                   // 00000000A0E8: D1000005 00BA2510
	v_perm_b32 v77, v5, v4, s52                                // 00000000A0F0: D1ED004D 00D20905
	v_cmp_u_f32_e64 s[46:47], v104, v104                       // 00000000A0F8: D048002E 0002D168
	v_add3_u32 v16, v104, v19, 1                               // 00000000A100: D1FF0010 02062768
	v_cndmask_b32_e64 v4, v16, v18, s[46:47]                   // 00000000A108: D1000004 00BA2510
	v_cmp_u_f32_e64 s[46:47], v105, v105                       // 00000000A110: D048002E 0002D369
	v_add3_u32 v16, v105, v19, 1                               // 00000000A118: D1FF0010 02062769
	v_cndmask_b32_e64 v5, v16, v18, s[46:47]                   // 00000000A120: D1000005 00BA2510
	v_perm_b32 v78, v5, v4, s52                                // 00000000A128: D1ED004E 00D20905
	v_cmp_u_f32_e64 s[46:47], v106, v106                       // 00000000A130: D048002E 0002D56A
	v_add3_u32 v16, v106, v19, 1                               // 00000000A138: D1FF0010 0206276A
	v_cndmask_b32_e64 v4, v16, v18, s[46:47]                   // 00000000A140: D1000004 00BA2510
	v_cmp_u_f32_e64 s[46:47], v107, v107                       // 00000000A148: D048002E 0002D76B
	v_add3_u32 v16, v107, v19, 1                               // 00000000A150: D1FF0010 0206276B
	v_cndmask_b32_e64 v5, v16, v18, s[46:47]                   // 00000000A158: D1000005 00BA2510
	v_perm_b32 v79, v5, v4, s52                                // 00000000A160: D1ED004F 00D20905
	v_cmp_u_f32_e64 s[46:47], v108, v108                       // 00000000A168: D048002E 0002D96C
	v_add3_u32 v16, v108, v19, 1                               // 00000000A170: D1FF0010 0206276C
	v_cndmask_b32_e64 v4, v16, v18, s[46:47]                   // 00000000A178: D1000004 00BA2510
	v_cmp_u_f32_e64 s[46:47], v109, v109                       // 00000000A180: D048002E 0002DB6D
	v_add3_u32 v16, v109, v19, 1                               // 00000000A188: D1FF0010 0206276D
	v_cndmask_b32_e64 v5, v16, v18, s[46:47]                   // 00000000A190: D1000005 00BA2510
	v_perm_b32 v80, v5, v4, s52                                // 00000000A198: D1ED0050 00D20905
	v_cmp_u_f32_e64 s[46:47], v110, v110                       // 00000000A1A0: D048002E 0002DD6E
	v_add3_u32 v16, v110, v19, 1                               // 00000000A1A8: D1FF0010 0206276E
	v_cndmask_b32_e64 v4, v16, v18, s[46:47]                   // 00000000A1B0: D1000004 00BA2510
	v_cmp_u_f32_e64 s[46:47], v111, v111                       // 00000000A1B8: D048002E 0002DF6F
	v_add3_u32 v16, v111, v19, 1                               // 00000000A1C0: D1FF0010 0206276F
	v_cndmask_b32_e64 v5, v16, v18, s[46:47]                   // 00000000A1C8: D1000005 00BA2510
	v_perm_b32 v81, v5, v4, s52                                // 00000000A1D0: D1ED0051 00D20905
	v_cmp_u_f32_e64 s[46:47], v112, v112                       // 00000000A1D8: D048002E 0002E170
	v_add3_u32 v16, v112, v19, 1                               // 00000000A1E0: D1FF0010 02062770
	v_cndmask_b32_e64 v4, v16, v18, s[46:47]                   // 00000000A1E8: D1000004 00BA2510
	v_cmp_u_f32_e64 s[46:47], v113, v113                       // 00000000A1F0: D048002E 0002E371
	v_add3_u32 v16, v113, v19, 1                               // 00000000A1F8: D1FF0010 02062771
	v_cndmask_b32_e64 v5, v16, v18, s[46:47]                   // 00000000A200: D1000005 00BA2510
	v_perm_b32 v82, v5, v4, s52                                // 00000000A208: D1ED0052 00D20905
	v_cmp_u_f32_e64 s[46:47], v114, v114                       // 00000000A210: D048002E 0002E572
	v_add3_u32 v16, v114, v19, 1                               // 00000000A218: D1FF0010 02062772
	v_cndmask_b32_e64 v4, v16, v18, s[46:47]                   // 00000000A220: D1000004 00BA2510
	v_cmp_u_f32_e64 s[46:47], v115, v115                       // 00000000A228: D048002E 0002E773
	v_add3_u32 v16, v115, v19, 1                               // 00000000A230: D1FF0010 02062773
	v_cndmask_b32_e64 v5, v16, v18, s[46:47]                   // 00000000A238: D1000005 00BA2510
	v_perm_b32 v83, v5, v4, s52                                // 00000000A240: D1ED0053 00D20905
	ds_write_b64 v20, v[52:53]                                 // 00000000A248: D89A0000 00003414
	ds_write_b64 v20, v[54:55] offset:17408                    // 00000000A250: D89A4400 00003614
	ds_write_b64 v20, v[56:57] offset:2176                     // 00000000A258: D89A0880 00003814
	ds_write_b64 v20, v[58:59] offset:19584                    // 00000000A260: D89A4C80 00003A14
	ds_write_b64 v20, v[60:61] offset:4352                     // 00000000A268: D89A1100 00003C14
	ds_write_b64 v20, v[62:63] offset:21760                    // 00000000A270: D89A5500 00003E14
	ds_write_b64 v20, v[64:65] offset:6528                     // 00000000A278: D89A1980 00004014
	ds_write_b64 v20, v[66:67] offset:23936                    // 00000000A280: D89A5D80 00004214
	ds_write_b64 v20, v[68:69] offset:8704                     // 00000000A288: D89A2200 00004414
	ds_write_b64 v20, v[70:71] offset:26112                    // 00000000A290: D89A6600 00004614
	ds_write_b64 v20, v[72:73] offset:10880                    // 00000000A298: D89A2A80 00004814
	ds_write_b64 v20, v[74:75] offset:28288                    // 00000000A2A0: D89A6E80 00004A14
	ds_write_b64 v20, v[76:77] offset:13056                    // 00000000A2A8: D89A3300 00004C14
	ds_write_b64 v20, v[78:79] offset:30464                    // 00000000A2B0: D89A7700 00004E14
	ds_write_b64 v20, v[80:81] offset:15232                    // 00000000A2B8: D89A3B80 00005014
	ds_write_b64 v20, v[82:83] offset:32640                    // 00000000A2C0: D89A7F80 00005214
	v_lshrrev_b32_e32 v4, 5, v0                                // 00000000A2C8: 20080085
	v_xor_b32_e32 v5, 1, v4                                    // 00000000A2CC: 2A0A0881
	s_mul_i32 s60, s65, 2                                      // 00000000A2D0: 923C8241
	s_cmp_eq_u32 s88, 0                                        // 00000000A2D4: BF068058
	s_cselect_b32 s61, 1, 4                                    // 00000000A2D8: 853D8481
	s_mul_i32 s60, s61, s60                                    // 00000000A2DC: 923C3C3D
	v_readlane_b32 s82, v3, 0                                  // 00000000A2E0: D2890052 00010103
	s_lshr_b32 s61, s82, 24                                    // 00000000A2E8: 8F3D9852
	s_and_b32 s82, s82, 0xffffff                               // 00000000A2EC: 8652FF52 00FFFFFF
	s_mul_i32 s82, s82, s71                                    // 00000000A2F4: 92524752
	s_mul_i32 s61, s60, s61                                    // 00000000A2F8: 923D3D3C
	s_add_u32 s82, s82, s61                                    // 00000000A2FC: 80523D52
	v_mul_lo_u32 v6, v5, s82                                   // 00000000A300: D2850006 0000A505
	v_readlane_b32 s82, v3, 1                                  // 00000000A308: D2890052 00010303
	s_lshr_b32 s61, s82, 24                                    // 00000000A310: 8F3D9852
	s_and_b32 s82, s82, 0xffffff                               // 00000000A314: 8652FF52 00FFFFFF
	s_mul_i32 s82, s82, s71                                    // 00000000A31C: 92524752
	s_mul_i32 s61, s60, s61                                    // 00000000A320: 923D3D3C
	s_add_u32 s82, s82, s61                                    // 00000000A324: 80523D52
	v_mul_lo_u32 v7, v4, s82                                   // 00000000A328: D2850007 0000A504
	v_add_u32_e32 v37, v6, v7                                  // 00000000A330: 684A0F06
	v_readlane_b32 s82, v3, 2                                  // 00000000A334: D2890052 00010503
	s_lshr_b32 s61, s82, 24                                    // 00000000A33C: 8F3D9852
	s_and_b32 s82, s82, 0xffffff                               // 00000000A340: 8652FF52 00FFFFFF
	s_mul_i32 s82, s82, s71                                    // 00000000A348: 92524752
	s_mul_i32 s61, s60, s61                                    // 00000000A34C: 923D3D3C
	s_add_u32 s82, s82, s61                                    // 00000000A350: 80523D52
	v_mul_lo_u32 v6, v5, s82                                   // 00000000A354: D2850006 0000A505
	v_readlane_b32 s82, v3, 3                                  // 00000000A35C: D2890052 00010703
	s_lshr_b32 s61, s82, 24                                    // 00000000A364: 8F3D9852
	s_and_b32 s82, s82, 0xffffff                               // 00000000A368: 8652FF52 00FFFFFF
	s_mul_i32 s82, s82, s71                                    // 00000000A370: 92524752
	s_mul_i32 s61, s60, s61                                    // 00000000A374: 923D3D3C
	s_add_u32 s82, s82, s61                                    // 00000000A378: 80523D52
	v_mul_lo_u32 v7, v4, s82                                   // 00000000A37C: D2850007 0000A504
	v_add_u32_e32 v38, v6, v7                                  // 00000000A384: 684C0F06
	v_readlane_b32 s82, v3, 4                                  // 00000000A388: D2890052 00010903
	s_lshr_b32 s61, s82, 24                                    // 00000000A390: 8F3D9852
	s_and_b32 s82, s82, 0xffffff                               // 00000000A394: 8652FF52 00FFFFFF
	s_mul_i32 s82, s82, s71                                    // 00000000A39C: 92524752
	s_mul_i32 s61, s60, s61                                    // 00000000A3A0: 923D3D3C
	s_add_u32 s82, s82, s61                                    // 00000000A3A4: 80523D52
	v_mul_lo_u32 v6, v5, s82                                   // 00000000A3A8: D2850006 0000A505
	v_readlane_b32 s82, v3, 5                                  // 00000000A3B0: D2890052 00010B03
	s_lshr_b32 s61, s82, 24                                    // 00000000A3B8: 8F3D9852
	s_and_b32 s82, s82, 0xffffff                               // 00000000A3BC: 8652FF52 00FFFFFF
	s_mul_i32 s82, s82, s71                                    // 00000000A3C4: 92524752
	s_mul_i32 s61, s60, s61                                    // 00000000A3C8: 923D3D3C
	s_add_u32 s82, s82, s61                                    // 00000000A3CC: 80523D52
	v_mul_lo_u32 v7, v4, s82                                   // 00000000A3D0: D2850007 0000A504
	v_add_u32_e32 v39, v6, v7                                  // 00000000A3D8: 684E0F06
	v_readlane_b32 s82, v3, 6                                  // 00000000A3DC: D2890052 00010D03
	s_lshr_b32 s61, s82, 24                                    // 00000000A3E4: 8F3D9852
	s_and_b32 s82, s82, 0xffffff                               // 00000000A3E8: 8652FF52 00FFFFFF
	s_mul_i32 s82, s82, s71                                    // 00000000A3F0: 92524752
	s_mul_i32 s61, s60, s61                                    // 00000000A3F4: 923D3D3C
	s_add_u32 s82, s82, s61                                    // 00000000A3F8: 80523D52
	v_mul_lo_u32 v6, v5, s82                                   // 00000000A3FC: D2850006 0000A505
	v_readlane_b32 s82, v3, 7                                  // 00000000A404: D2890052 00010F03
	s_lshr_b32 s61, s82, 24                                    // 00000000A40C: 8F3D9852
	s_and_b32 s82, s82, 0xffffff                               // 00000000A410: 8652FF52 00FFFFFF
	s_mul_i32 s82, s82, s71                                    // 00000000A418: 92524752
	s_mul_i32 s61, s60, s61                                    // 00000000A41C: 923D3D3C
	s_add_u32 s82, s82, s61                                    // 00000000A420: 80523D52
	v_mul_lo_u32 v7, v4, s82                                   // 00000000A424: D2850007 0000A504
	v_add_u32_e32 v40, v6, v7                                  // 00000000A42C: 68500F06
	v_and_b32_e32 v4, 31, v0                                   // 00000000A430: 2608009F
	v_lshrrev_b32_e32 v4, 1, v4                                // 00000000A434: 20080881
	s_cmp_eq_u32 s88, 0                                        // 00000000A438: BF068058
	s_cselect_b32 s61, 2, 4                                    // 00000000A43C: 853D8482
	v_mul_lo_u32 v4, v4, s61                                   // 00000000A440: D2850004 00007B04
	v_and_b32_e64 v5, v0, 1                                    // 00000000A448: D1130005 00010300
	v_add_u32_e32 v4, v4, v5                                   // 00000000A450: 68080B04
	v_lshlrev_b32_e32 v4, 2, v4                                // 00000000A454: 24080882
	v_add_u32_e32 v37, v37, v4                                 // 00000000A458: 684A0925
	v_add_u32_e32 v38, v38, v4                                 // 00000000A45C: 684C0926
	v_add_u32_e32 v39, v39, v4                                 // 00000000A460: 684E0927
	v_add_u32_e32 v40, v40, v4                                 // 00000000A464: 68500928
	s_waitcnt lgkmcnt(0)                                       // 00000000A468: BF8CC07F
	s_barrier                                                  // 00000000A46C: BF8A0000
	ds_read_b32 v52, v21                                       // 00000000A470: D86C0000 34000015
	ds_read_b32 v53, v21 offset:64                             // 00000000A478: D86C0040 35000015
	ds_read_b32 v54, v21 offset:2176                           // 00000000A480: D86C0880 36000015
	ds_read_b32 v55, v21 offset:2240                           // 00000000A488: D86C08C0 37000015
	ds_read_b32 v56, v21 offset:4352                           // 00000000A490: D86C1100 38000015
	ds_read_b32 v57, v21 offset:4416                           // 00000000A498: D86C1140 39000015
	ds_read_b32 v58, v21 offset:6528                           // 00000000A4A0: D86C1980 3A000015
	ds_read_b32 v59, v21 offset:6592                           // 00000000A4A8: D86C19C0 3B000015
	ds_read_b32 v60, v21 offset:8704                           // 00000000A4B0: D86C2200 3C000015
	ds_read_b32 v61, v21 offset:8768                           // 00000000A4B8: D86C2240 3D000015
	ds_read_b32 v62, v21 offset:10880                          // 00000000A4C0: D86C2A80 3E000015
	ds_read_b32 v63, v21 offset:10944                          // 00000000A4C8: D86C2AC0 3F000015
	ds_read_b32 v64, v21 offset:13056                          // 00000000A4D0: D86C3300 40000015
	ds_read_b32 v65, v21 offset:13120                          // 00000000A4D8: D86C3340 41000015
	ds_read_b32 v66, v21 offset:15232                          // 00000000A4E0: D86C3B80 42000015
	ds_read_b32 v67, v21 offset:15296                          // 00000000A4E8: D86C3BC0 43000015
	ds_read_b32 v68, v21 offset:17408                          // 00000000A4F0: D86C4400 44000015
	ds_read_b32 v69, v21 offset:17472                          // 00000000A4F8: D86C4440 45000015
	ds_read_b32 v70, v21 offset:19584                          // 00000000A500: D86C4C80 46000015
	ds_read_b32 v71, v21 offset:19648                          // 00000000A508: D86C4CC0 47000015
	ds_read_b32 v72, v21 offset:21760                          // 00000000A510: D86C5500 48000015
	ds_read_b32 v73, v21 offset:21824                          // 00000000A518: D86C5540 49000015
	ds_read_b32 v74, v21 offset:23936                          // 00000000A520: D86C5D80 4A000015
	ds_read_b32 v75, v21 offset:24000                          // 00000000A528: D86C5DC0 4B000015
	ds_read_b32 v76, v21 offset:26112                          // 00000000A530: D86C6600 4C000015
	ds_read_b32 v77, v21 offset:26176                          // 00000000A538: D86C6640 4D000015
	ds_read_b32 v78, v21 offset:28288                          // 00000000A540: D86C6E80 4E000015
	ds_read_b32 v79, v21 offset:28352                          // 00000000A548: D86C6EC0 4F000015
	ds_read_b32 v80, v21 offset:30464                          // 00000000A550: D86C7700 50000015
	ds_read_b32 v81, v21 offset:30528                          // 00000000A558: D86C7740 51000015
	ds_read_b32 v82, v21 offset:32640                          // 00000000A560: D86C7F80 52000015
	ds_read_b32 v83, v21 offset:32704                          // 00000000A568: D86C7FC0 53000015
	s_waitcnt lgkmcnt(0)                                       // 00000000A570: BF8CC07F
	s_mov_b32 s36, -1                                          // 00000000A574: BEA400C1
	s_mov_b32 s37, -1                                          // 00000000A578: BEA500C1
	v_mov_b32_e32 v7, 0                                        // 00000000A57C: 7E0E0280
	s_or_b32 s9, s9, 0x40000                                   // 00000000A580: 8709FF09 00040000
	s_mov_b64 exec, s[36:37]                                   // 00000000A588: BEFE0124
	v_mov_b32_e32 v6, v37                                      // 00000000A58C: 7E0C0325
	s_mov_b64 s[60:61], 0                                      // 00000000A590: BEBC0180
	v_readlane_b32 s82, v3, 0                                  // 00000000A594: D2890052 00010103
	s_and_b32 s82, s82, 0xffffff                               // 00000000A59C: 8652FF52 00FFFFFF
	s_cmp_lt_u32 s82, s66                                      // 00000000A5A4: BF0A4252
	s_cselect_b32 s20, s36, s60                                // 00000000A5A8: 85143C24
	v_readlane_b32 s82, v3, 1                                  // 00000000A5AC: D2890052 00010303
	s_and_b32 s82, s82, 0xffffff                               // 00000000A5B4: 8652FF52 00FFFFFF
	s_cmp_lt_u32 s82, s66                                      // 00000000A5BC: BF0A4252
	s_cselect_b32 s21, s36, s60                                // 00000000A5C0: 85153C24
	s_mov_b64 exec, s[20:21]                                   // 00000000A5C4: BEFE0114
	buffer_store_dword v52, v6, s[8:11], 0 offen               // 00000000A5C8: E0701000 80023406
	buffer_store_dword v54, v6, s[8:11], 0 offen offset:128    // 00000000A5D0: E0701080 80023606
	buffer_store_dword v56, v6, s[8:11], 0 offen offset:256    // 00000000A5D8: E0701100 80023806
	buffer_store_dword v58, v6, s[8:11], 0 offen offset:384    // 00000000A5E0: E0701180 80023A06
	buffer_store_dword v60, v6, s[8:11], 0 offen offset:512    // 00000000A5E8: E0701200 80023C06
	buffer_store_dword v62, v6, s[8:11], 0 offen offset:640    // 00000000A5F0: E0701280 80023E06
	buffer_store_dword v64, v6, s[8:11], 0 offen offset:768    // 00000000A5F8: E0701300 80024006
	buffer_store_dword v66, v6, s[8:11], 0 offen offset:896    // 00000000A600: E0701380 80024206
	s_mov_b64 exec, s[36:37]                                   // 00000000A608: BEFE0124
	v_mov_b32_e32 v6, v38                                      // 00000000A60C: 7E0C0326
	s_mov_b64 s[60:61], 0                                      // 00000000A610: BEBC0180
	v_readlane_b32 s82, v3, 2                                  // 00000000A614: D2890052 00010503
	s_and_b32 s82, s82, 0xffffff                               // 00000000A61C: 8652FF52 00FFFFFF
	s_cmp_lt_u32 s82, s66                                      // 00000000A624: BF0A4252
	s_cselect_b32 s20, s36, s60                                // 00000000A628: 85143C24
	v_readlane_b32 s82, v3, 3                                  // 00000000A62C: D2890052 00010703
	s_and_b32 s82, s82, 0xffffff                               // 00000000A634: 8652FF52 00FFFFFF
	s_cmp_lt_u32 s82, s66                                      // 00000000A63C: BF0A4252
	s_cselect_b32 s21, s36, s60                                // 00000000A640: 85153C24
	s_mov_b64 exec, s[20:21]                                   // 00000000A644: BEFE0114
	buffer_store_dword v53, v6, s[8:11], 0 offen               // 00000000A648: E0701000 80023506
	buffer_store_dword v55, v6, s[8:11], 0 offen offset:128    // 00000000A650: E0701080 80023706
	buffer_store_dword v57, v6, s[8:11], 0 offen offset:256    // 00000000A658: E0701100 80023906
	buffer_store_dword v59, v6, s[8:11], 0 offen offset:384    // 00000000A660: E0701180 80023B06
	buffer_store_dword v61, v6, s[8:11], 0 offen offset:512    // 00000000A668: E0701200 80023D06
	buffer_store_dword v63, v6, s[8:11], 0 offen offset:640    // 00000000A670: E0701280 80023F06
	buffer_store_dword v65, v6, s[8:11], 0 offen offset:768    // 00000000A678: E0701300 80024106
	buffer_store_dword v67, v6, s[8:11], 0 offen offset:896    // 00000000A680: E0701380 80024306
	s_mov_b64 exec, s[36:37]                                   // 00000000A688: BEFE0124
	v_mov_b32_e32 v6, v39                                      // 00000000A68C: 7E0C0327
	s_mov_b64 s[60:61], 0                                      // 00000000A690: BEBC0180
	v_readlane_b32 s82, v3, 4                                  // 00000000A694: D2890052 00010903
	s_and_b32 s82, s82, 0xffffff                               // 00000000A69C: 8652FF52 00FFFFFF
	s_cmp_lt_u32 s82, s66                                      // 00000000A6A4: BF0A4252
	s_cselect_b32 s20, s36, s60                                // 00000000A6A8: 85143C24
	v_readlane_b32 s82, v3, 5                                  // 00000000A6AC: D2890052 00010B03
	s_and_b32 s82, s82, 0xffffff                               // 00000000A6B4: 8652FF52 00FFFFFF
	s_cmp_lt_u32 s82, s66                                      // 00000000A6BC: BF0A4252
	s_cselect_b32 s21, s36, s60                                // 00000000A6C0: 85153C24
	s_mov_b64 exec, s[20:21]                                   // 00000000A6C4: BEFE0114
	buffer_store_dword v68, v6, s[8:11], 0 offen               // 00000000A6C8: E0701000 80024406
	buffer_store_dword v70, v6, s[8:11], 0 offen offset:128    // 00000000A6D0: E0701080 80024606
	buffer_store_dword v72, v6, s[8:11], 0 offen offset:256    // 00000000A6D8: E0701100 80024806
	buffer_store_dword v74, v6, s[8:11], 0 offen offset:384    // 00000000A6E0: E0701180 80024A06
	buffer_store_dword v76, v6, s[8:11], 0 offen offset:512    // 00000000A6E8: E0701200 80024C06
	buffer_store_dword v78, v6, s[8:11], 0 offen offset:640    // 00000000A6F0: E0701280 80024E06
	buffer_store_dword v80, v6, s[8:11], 0 offen offset:768    // 00000000A6F8: E0701300 80025006
	buffer_store_dword v82, v6, s[8:11], 0 offen offset:896    // 00000000A700: E0701380 80025206
	s_mov_b64 exec, s[36:37]                                   // 00000000A708: BEFE0124
	v_mov_b32_e32 v6, v40                                      // 00000000A70C: 7E0C0328
	s_mov_b64 s[60:61], 0                                      // 00000000A710: BEBC0180
	v_readlane_b32 s82, v3, 6                                  // 00000000A714: D2890052 00010D03
	s_and_b32 s82, s82, 0xffffff                               // 00000000A71C: 8652FF52 00FFFFFF
	s_cmp_lt_u32 s82, s66                                      // 00000000A724: BF0A4252
	s_cselect_b32 s20, s36, s60                                // 00000000A728: 85143C24
	v_readlane_b32 s82, v3, 7                                  // 00000000A72C: D2890052 00010F03
	s_and_b32 s82, s82, 0xffffff                               // 00000000A734: 8652FF52 00FFFFFF
	s_cmp_lt_u32 s82, s66                                      // 00000000A73C: BF0A4252
	s_cselect_b32 s21, s36, s60                                // 00000000A740: 85153C24
	s_mov_b64 exec, s[20:21]                                   // 00000000A744: BEFE0114
	buffer_store_dword v69, v6, s[8:11], 0 offen               // 00000000A748: E0701000 80024506
	buffer_store_dword v71, v6, s[8:11], 0 offen offset:128    // 00000000A750: E0701080 80024706
	buffer_store_dword v73, v6, s[8:11], 0 offen offset:256    // 00000000A758: E0701100 80024906
	buffer_store_dword v75, v6, s[8:11], 0 offen offset:384    // 00000000A760: E0701180 80024B06
	buffer_store_dword v77, v6, s[8:11], 0 offen offset:512    // 00000000A768: E0701200 80024D06
	buffer_store_dword v79, v6, s[8:11], 0 offen offset:640    // 00000000A770: E0701280 80024F06
	buffer_store_dword v81, v6, s[8:11], 0 offen offset:768    // 00000000A778: E0701300 80025106
	buffer_store_dword v83, v6, s[8:11], 0 offen offset:896    // 00000000A780: E0701380 80025306
	s_mov_b64 exec, s[36:37]                                   // 00000000A788: BEFE0124
	s_branch label_2369                                        // 00000000A78C: BF820402

000000000000a790 <label_1F67>:
	ds_write_b64 v20, v[52:53]                                 // 00000000A790: D89A0000 00003414
	ds_write_b64 v20, v[56:57] offset:17408                    // 00000000A798: D89A4400 00003814
	ds_write_b64 v20, v[60:61] offset:2176                     // 00000000A7A0: D89A0880 00003C14
	ds_write_b64 v20, v[64:65] offset:19584                    // 00000000A7A8: D89A4C80 00004014
	ds_write_b64 v20, v[68:69] offset:4352                     // 00000000A7B0: D89A1100 00004414
	ds_write_b64 v20, v[72:73] offset:21760                    // 00000000A7B8: D89A5500 00004814
	ds_write_b64 v20, v[76:77] offset:6528                     // 00000000A7C0: D89A1980 00004C14
	ds_write_b64 v20, v[80:81] offset:23936                    // 00000000A7C8: D89A5D80 00005014
	ds_write_b64 v20, v[84:85] offset:8704                     // 00000000A7D0: D89A2200 00005414
	ds_write_b64 v20, v[88:89] offset:26112                    // 00000000A7D8: D89A6600 00005814
	ds_write_b64 v20, v[92:93] offset:10880                    // 00000000A7E0: D89A2A80 00005C14
	ds_write_b64 v20, v[96:97] offset:28288                    // 00000000A7E8: D89A6E80 00006014
	ds_write_b64 v20, v[100:101] offset:13056                  // 00000000A7F0: D89A3300 00006414
	ds_write_b64 v20, v[104:105] offset:30464                  // 00000000A7F8: D89A7700 00006814
	ds_write_b64 v20, v[108:109] offset:15232                  // 00000000A800: D89A3B80 00006C14
	ds_write_b64 v20, v[112:113] offset:32640                  // 00000000A808: D89A7F80 00007014
	v_lshrrev_b32_e32 v4, 5, v0                                // 00000000A810: 20080085
	v_xor_b32_e32 v5, 1, v4                                    // 00000000A814: 2A0A0881
	s_mul_i32 s60, s65, 2                                      // 00000000A818: 923C8241
	s_cmp_eq_u32 s88, 0                                        // 00000000A81C: BF068058
	s_cselect_b32 s61, 1, 4                                    // 00000000A820: 853D8481
	s_mul_i32 s60, s61, s60                                    // 00000000A824: 923C3C3D
	v_readlane_b32 s82, v3, 0                                  // 00000000A828: D2890052 00010103
	s_lshr_b32 s61, s82, 24                                    // 00000000A830: 8F3D9852
	s_and_b32 s82, s82, 0xffffff                               // 00000000A834: 8652FF52 00FFFFFF
	s_mul_i32 s82, s82, s71                                    // 00000000A83C: 92524752
	s_mul_i32 s61, s60, s61                                    // 00000000A840: 923D3D3C
	s_add_u32 s82, s82, s61                                    // 00000000A844: 80523D52
	v_mul_lo_u32 v6, v5, s82                                   // 00000000A848: D2850006 0000A505
	v_readlane_b32 s82, v3, 1                                  // 00000000A850: D2890052 00010303
	s_lshr_b32 s61, s82, 24                                    // 00000000A858: 8F3D9852
	s_and_b32 s82, s82, 0xffffff                               // 00000000A85C: 8652FF52 00FFFFFF
	s_mul_i32 s82, s82, s71                                    // 00000000A864: 92524752
	s_mul_i32 s61, s60, s61                                    // 00000000A868: 923D3D3C
	s_add_u32 s82, s82, s61                                    // 00000000A86C: 80523D52
	v_mul_lo_u32 v7, v4, s82                                   // 00000000A870: D2850007 0000A504
	v_add_u32_e32 v37, v6, v7                                  // 00000000A878: 684A0F06
	v_readlane_b32 s82, v3, 2                                  // 00000000A87C: D2890052 00010503
	s_lshr_b32 s61, s82, 24                                    // 00000000A884: 8F3D9852
	s_and_b32 s82, s82, 0xffffff                               // 00000000A888: 8652FF52 00FFFFFF
	s_mul_i32 s82, s82, s71                                    // 00000000A890: 92524752
	s_mul_i32 s61, s60, s61                                    // 00000000A894: 923D3D3C
	s_add_u32 s82, s82, s61                                    // 00000000A898: 80523D52
	v_mul_lo_u32 v6, v5, s82                                   // 00000000A89C: D2850006 0000A505
	v_readlane_b32 s82, v3, 3                                  // 00000000A8A4: D2890052 00010703
	s_lshr_b32 s61, s82, 24                                    // 00000000A8AC: 8F3D9852
	s_and_b32 s82, s82, 0xffffff                               // 00000000A8B0: 8652FF52 00FFFFFF
	s_mul_i32 s82, s82, s71                                    // 00000000A8B8: 92524752
	s_mul_i32 s61, s60, s61                                    // 00000000A8BC: 923D3D3C
	s_add_u32 s82, s82, s61                                    // 00000000A8C0: 80523D52
	v_mul_lo_u32 v7, v4, s82                                   // 00000000A8C4: D2850007 0000A504
	v_add_u32_e32 v38, v6, v7                                  // 00000000A8CC: 684C0F06
	v_readlane_b32 s82, v3, 4                                  // 00000000A8D0: D2890052 00010903
	s_lshr_b32 s61, s82, 24                                    // 00000000A8D8: 8F3D9852
	s_and_b32 s82, s82, 0xffffff                               // 00000000A8DC: 8652FF52 00FFFFFF
	s_mul_i32 s82, s82, s71                                    // 00000000A8E4: 92524752
	s_mul_i32 s61, s60, s61                                    // 00000000A8E8: 923D3D3C
	s_add_u32 s82, s82, s61                                    // 00000000A8EC: 80523D52
	v_mul_lo_u32 v6, v5, s82                                   // 00000000A8F0: D2850006 0000A505
	v_readlane_b32 s82, v3, 5                                  // 00000000A8F8: D2890052 00010B03
	s_lshr_b32 s61, s82, 24                                    // 00000000A900: 8F3D9852
	s_and_b32 s82, s82, 0xffffff                               // 00000000A904: 8652FF52 00FFFFFF
	s_mul_i32 s82, s82, s71                                    // 00000000A90C: 92524752
	s_mul_i32 s61, s60, s61                                    // 00000000A910: 923D3D3C
	s_add_u32 s82, s82, s61                                    // 00000000A914: 80523D52
	v_mul_lo_u32 v7, v4, s82                                   // 00000000A918: D2850007 0000A504
	v_add_u32_e32 v39, v6, v7                                  // 00000000A920: 684E0F06
	v_readlane_b32 s82, v3, 6                                  // 00000000A924: D2890052 00010D03
	s_lshr_b32 s61, s82, 24                                    // 00000000A92C: 8F3D9852
	s_and_b32 s82, s82, 0xffffff                               // 00000000A930: 8652FF52 00FFFFFF
	s_mul_i32 s82, s82, s71                                    // 00000000A938: 92524752
	s_mul_i32 s61, s60, s61                                    // 00000000A93C: 923D3D3C
	s_add_u32 s82, s82, s61                                    // 00000000A940: 80523D52
	v_mul_lo_u32 v6, v5, s82                                   // 00000000A944: D2850006 0000A505
	v_readlane_b32 s82, v3, 7                                  // 00000000A94C: D2890052 00010F03
	s_lshr_b32 s61, s82, 24                                    // 00000000A954: 8F3D9852
	s_and_b32 s82, s82, 0xffffff                               // 00000000A958: 8652FF52 00FFFFFF
	s_mul_i32 s82, s82, s71                                    // 00000000A960: 92524752
	s_mul_i32 s61, s60, s61                                    // 00000000A964: 923D3D3C
	s_add_u32 s82, s82, s61                                    // 00000000A968: 80523D52
	v_mul_lo_u32 v7, v4, s82                                   // 00000000A96C: D2850007 0000A504
	v_add_u32_e32 v40, v6, v7                                  // 00000000A974: 68500F06
	v_and_b32_e32 v4, 31, v0                                   // 00000000A978: 2608009F
	v_lshrrev_b32_e32 v4, 1, v4                                // 00000000A97C: 20080881
	s_cmp_eq_u32 s88, 0                                        // 00000000A980: BF068058
	s_cselect_b32 s61, 2, 4                                    // 00000000A984: 853D8482
	v_mul_lo_u32 v4, v4, s61                                   // 00000000A988: D2850004 00007B04
	v_and_b32_e64 v5, v0, 1                                    // 00000000A990: D1130005 00010300
	v_add_u32_e32 v4, v4, v5                                   // 00000000A998: 68080B04
	v_lshlrev_b32_e32 v4, 2, v4                                // 00000000A99C: 24080882
	v_add_u32_e32 v37, v37, v4                                 // 00000000A9A0: 684A0925
	v_add_u32_e32 v38, v38, v4                                 // 00000000A9A4: 684C0926
	v_add_u32_e32 v39, v39, v4                                 // 00000000A9A8: 684E0927
	v_add_u32_e32 v40, v40, v4                                 // 00000000A9AC: 68500928
	s_waitcnt lgkmcnt(0)                                       // 00000000A9B0: BF8CC07F
	s_barrier                                                  // 00000000A9B4: BF8A0000
	ds_read_b32 v52, v21                                       // 00000000A9B8: D86C0000 34000015
	ds_read_b32 v53, v21 offset:64                             // 00000000A9C0: D86C0040 35000015
	ds_read_b32 v56, v21 offset:2176                           // 00000000A9C8: D86C0880 38000015
	ds_read_b32 v57, v21 offset:2240                           // 00000000A9D0: D86C08C0 39000015
	ds_read_b32 v60, v21 offset:4352                           // 00000000A9D8: D86C1100 3C000015
	ds_read_b32 v61, v21 offset:4416                           // 00000000A9E0: D86C1140 3D000015
	ds_read_b32 v64, v21 offset:6528                           // 00000000A9E8: D86C1980 40000015
	ds_read_b32 v65, v21 offset:6592                           // 00000000A9F0: D86C19C0 41000015
	ds_read_b32 v68, v21 offset:8704                           // 00000000A9F8: D86C2200 44000015
	ds_read_b32 v69, v21 offset:8768                           // 00000000AA00: D86C2240 45000015
	ds_read_b32 v72, v21 offset:10880                          // 00000000AA08: D86C2A80 48000015
	ds_read_b32 v73, v21 offset:10944                          // 00000000AA10: D86C2AC0 49000015
	ds_read_b32 v76, v21 offset:13056                          // 00000000AA18: D86C3300 4C000015
	ds_read_b32 v77, v21 offset:13120                          // 00000000AA20: D86C3340 4D000015
	ds_read_b32 v80, v21 offset:15232                          // 00000000AA28: D86C3B80 50000015
	ds_read_b32 v81, v21 offset:15296                          // 00000000AA30: D86C3BC0 51000015
	ds_read_b32 v84, v21 offset:17408                          // 00000000AA38: D86C4400 54000015
	ds_read_b32 v85, v21 offset:17472                          // 00000000AA40: D86C4440 55000015
	ds_read_b32 v88, v21 offset:19584                          // 00000000AA48: D86C4C80 58000015
	ds_read_b32 v89, v21 offset:19648                          // 00000000AA50: D86C4CC0 59000015
	ds_read_b32 v92, v21 offset:21760                          // 00000000AA58: D86C5500 5C000015
	ds_read_b32 v93, v21 offset:21824                          // 00000000AA60: D86C5540 5D000015
	ds_read_b32 v96, v21 offset:23936                          // 00000000AA68: D86C5D80 60000015
	ds_read_b32 v97, v21 offset:24000                          // 00000000AA70: D86C5DC0 61000015
	ds_read_b32 v100, v21 offset:26112                         // 00000000AA78: D86C6600 64000015
	ds_read_b32 v101, v21 offset:26176                         // 00000000AA80: D86C6640 65000015
	ds_read_b32 v104, v21 offset:28288                         // 00000000AA88: D86C6E80 68000015
	ds_read_b32 v105, v21 offset:28352                         // 00000000AA90: D86C6EC0 69000015
	ds_read_b32 v108, v21 offset:30464                         // 00000000AA98: D86C7700 6C000015
	ds_read_b32 v109, v21 offset:30528                         // 00000000AAA0: D86C7740 6D000015
	ds_read_b32 v112, v21 offset:32640                         // 00000000AAA8: D86C7F80 70000015
	ds_read_b32 v113, v21 offset:32704                         // 00000000AAB0: D86C7FC0 71000015
	s_waitcnt lgkmcnt(0)                                       // 00000000AAB8: BF8CC07F
	s_mov_b32 s36, -1                                          // 00000000AABC: BEA400C1
	s_mov_b32 s37, -1                                          // 00000000AAC0: BEA500C1
	v_mov_b32_e32 v7, 0                                        // 00000000AAC4: 7E0E0280
	s_mov_b64 exec, s[36:37]                                   // 00000000AAC8: BEFE0124
	v_mov_b32_e32 v6, v37                                      // 00000000AACC: 7E0C0325
	s_mov_b64 s[60:61], 0                                      // 00000000AAD0: BEBC0180
	v_readlane_b32 s82, v3, 0                                  // 00000000AAD4: D2890052 00010103
	s_and_b32 s82, s82, 0xffffff                               // 00000000AADC: 8652FF52 00FFFFFF
	s_cmp_lt_u32 s82, s66                                      // 00000000AAE4: BF0A4252
	s_cselect_b32 s20, s36, s60                                // 00000000AAE8: 85143C24
	v_readlane_b32 s82, v3, 1                                  // 00000000AAEC: D2890052 00010303
	s_and_b32 s82, s82, 0xffffff                               // 00000000AAF4: 8652FF52 00FFFFFF
	s_cmp_lt_u32 s82, s66                                      // 00000000AAFC: BF0A4252
	s_cselect_b32 s21, s36, s60                                // 00000000AB00: 85153C24
	s_mov_b64 exec, s[20:21]                                   // 00000000AB04: BEFE0114
	global_atomic_add_f32 v6, v52, s[8:9]                      // 00000000AB08: DD348000 00083406
	global_atomic_add_f32 v6, v56, s[8:9] offset:256           // 00000000AB10: DD348100 00083806
	global_atomic_add_f32 v6, v60, s[8:9] offset:512           // 00000000AB18: DD348200 00083C06
	global_atomic_add_f32 v6, v64, s[8:9] offset:768           // 00000000AB20: DD348300 00084006
	global_atomic_add_f32 v6, v68, s[8:9] offset:1024          // 00000000AB28: DD348400 00084406
	global_atomic_add_f32 v6, v72, s[8:9] offset:1280          // 00000000AB30: DD348500 00084806
	global_atomic_add_f32 v6, v76, s[8:9] offset:1536          // 00000000AB38: DD348600 00084C06
	global_atomic_add_f32 v6, v80, s[8:9] offset:1792          // 00000000AB40: DD348700 00085006
	s_mov_b64 exec, s[36:37]                                   // 00000000AB48: BEFE0124
	v_mov_b32_e32 v6, v38                                      // 00000000AB4C: 7E0C0326
	s_mov_b64 s[60:61], 0                                      // 00000000AB50: BEBC0180
	v_readlane_b32 s82, v3, 2                                  // 00000000AB54: D2890052 00010503
	s_and_b32 s82, s82, 0xffffff                               // 00000000AB5C: 8652FF52 00FFFFFF
	s_cmp_lt_u32 s82, s66                                      // 00000000AB64: BF0A4252
	s_cselect_b32 s20, s36, s60                                // 00000000AB68: 85143C24
	v_readlane_b32 s82, v3, 3                                  // 00000000AB6C: D2890052 00010703
	s_and_b32 s82, s82, 0xffffff                               // 00000000AB74: 8652FF52 00FFFFFF
	s_cmp_lt_u32 s82, s66                                      // 00000000AB7C: BF0A4252
	s_cselect_b32 s21, s36, s60                                // 00000000AB80: 85153C24
	s_mov_b64 exec, s[20:21]                                   // 00000000AB84: BEFE0114
	global_atomic_add_f32 v6, v53, s[8:9]                      // 00000000AB88: DD348000 00083506
	global_atomic_add_f32 v6, v57, s[8:9] offset:256           // 00000000AB90: DD348100 00083906
	global_atomic_add_f32 v6, v61, s[8:9] offset:512           // 00000000AB98: DD348200 00083D06
	global_atomic_add_f32 v6, v65, s[8:9] offset:768           // 00000000ABA0: DD348300 00084106
	global_atomic_add_f32 v6, v69, s[8:9] offset:1024          // 00000000ABA8: DD348400 00084506
	global_atomic_add_f32 v6, v73, s[8:9] offset:1280          // 00000000ABB0: DD348500 00084906
	global_atomic_add_f32 v6, v77, s[8:9] offset:1536          // 00000000ABB8: DD348600 00084D06
	global_atomic_add_f32 v6, v81, s[8:9] offset:1792          // 00000000ABC0: DD348700 00085106
	s_mov_b64 exec, s[36:37]                                   // 00000000ABC8: BEFE0124
	v_mov_b32_e32 v6, v39                                      // 00000000ABCC: 7E0C0327
	s_mov_b64 s[60:61], 0                                      // 00000000ABD0: BEBC0180
	v_readlane_b32 s82, v3, 4                                  // 00000000ABD4: D2890052 00010903
	s_and_b32 s82, s82, 0xffffff                               // 00000000ABDC: 8652FF52 00FFFFFF
	s_cmp_lt_u32 s82, s66                                      // 00000000ABE4: BF0A4252
	s_cselect_b32 s20, s36, s60                                // 00000000ABE8: 85143C24
	v_readlane_b32 s82, v3, 5                                  // 00000000ABEC: D2890052 00010B03
	s_and_b32 s82, s82, 0xffffff                               // 00000000ABF4: 8652FF52 00FFFFFF
	s_cmp_lt_u32 s82, s66                                      // 00000000ABFC: BF0A4252
	s_cselect_b32 s21, s36, s60                                // 00000000AC00: 85153C24
	s_mov_b64 exec, s[20:21]                                   // 00000000AC04: BEFE0114
	global_atomic_add_f32 v6, v84, s[8:9]                      // 00000000AC08: DD348000 00085406
	global_atomic_add_f32 v6, v88, s[8:9] offset:256           // 00000000AC10: DD348100 00085806
	global_atomic_add_f32 v6, v92, s[8:9] offset:512           // 00000000AC18: DD348200 00085C06
	global_atomic_add_f32 v6, v96, s[8:9] offset:768           // 00000000AC20: DD348300 00086006
	global_atomic_add_f32 v6, v100, s[8:9] offset:1024         // 00000000AC28: DD348400 00086406
	global_atomic_add_f32 v6, v104, s[8:9] offset:1280         // 00000000AC30: DD348500 00086806
	global_atomic_add_f32 v6, v108, s[8:9] offset:1536         // 00000000AC38: DD348600 00086C06
	global_atomic_add_f32 v6, v112, s[8:9] offset:1792         // 00000000AC40: DD348700 00087006
	s_mov_b64 exec, s[36:37]                                   // 00000000AC48: BEFE0124
	v_mov_b32_e32 v6, v40                                      // 00000000AC4C: 7E0C0328
	s_mov_b64 s[60:61], 0                                      // 00000000AC50: BEBC0180
	v_readlane_b32 s82, v3, 6                                  // 00000000AC54: D2890052 00010D03
	s_and_b32 s82, s82, 0xffffff                               // 00000000AC5C: 8652FF52 00FFFFFF
	s_cmp_lt_u32 s82, s66                                      // 00000000AC64: BF0A4252
	s_cselect_b32 s20, s36, s60                                // 00000000AC68: 85143C24
	v_readlane_b32 s82, v3, 7                                  // 00000000AC6C: D2890052 00010F03
	s_and_b32 s82, s82, 0xffffff                               // 00000000AC74: 8652FF52 00FFFFFF
	s_cmp_lt_u32 s82, s66                                      // 00000000AC7C: BF0A4252
	s_cselect_b32 s21, s36, s60                                // 00000000AC80: 85153C24
	s_mov_b64 exec, s[20:21]                                   // 00000000AC84: BEFE0114
	global_atomic_add_f32 v6, v85, s[8:9]                      // 00000000AC88: DD348000 00085506
	global_atomic_add_f32 v6, v89, s[8:9] offset:256           // 00000000AC90: DD348100 00085906
	global_atomic_add_f32 v6, v93, s[8:9] offset:512           // 00000000AC98: DD348200 00085D06
	global_atomic_add_f32 v6, v97, s[8:9] offset:768           // 00000000ACA0: DD348300 00086106
	global_atomic_add_f32 v6, v101, s[8:9] offset:1024         // 00000000ACA8: DD348400 00086506
	global_atomic_add_f32 v6, v105, s[8:9] offset:1280         // 00000000ACB0: DD348500 00086906
	global_atomic_add_f32 v6, v109, s[8:9] offset:1536         // 00000000ACB8: DD348600 00086D06
	global_atomic_add_f32 v6, v113, s[8:9] offset:1792         // 00000000ACC0: DD348700 00087106
	s_mov_b64 exec, s[36:37]                                   // 00000000ACC8: BEFE0124
	ds_write_b64 v20, v[54:55]                                 // 00000000ACCC: D89A0000 00003614
	ds_write_b64 v20, v[58:59] offset:17408                    // 00000000ACD4: D89A4400 00003A14
	ds_write_b64 v20, v[62:63] offset:2176                     // 00000000ACDC: D89A0880 00003E14
	ds_write_b64 v20, v[66:67] offset:19584                    // 00000000ACE4: D89A4C80 00004214
	ds_write_b64 v20, v[70:71] offset:4352                     // 00000000ACEC: D89A1100 00004614
	ds_write_b64 v20, v[74:75] offset:21760                    // 00000000ACF4: D89A5500 00004A14
	ds_write_b64 v20, v[78:79] offset:6528                     // 00000000ACFC: D89A1980 00004E14
	ds_write_b64 v20, v[82:83] offset:23936                    // 00000000AD04: D89A5D80 00005214
	ds_write_b64 v20, v[86:87] offset:8704                     // 00000000AD0C: D89A2200 00005614
	ds_write_b64 v20, v[90:91] offset:26112                    // 00000000AD14: D89A6600 00005A14
	ds_write_b64 v20, v[94:95] offset:10880                    // 00000000AD1C: D89A2A80 00005E14
	ds_write_b64 v20, v[98:99] offset:28288                    // 00000000AD24: D89A6E80 00006214
	ds_write_b64 v20, v[102:103] offset:13056                  // 00000000AD2C: D89A3300 00006614
	ds_write_b64 v20, v[106:107] offset:30464                  // 00000000AD34: D89A7700 00006A14
	ds_write_b64 v20, v[110:111] offset:15232                  // 00000000AD3C: D89A3B80 00006E14
	ds_write_b64 v20, v[114:115] offset:32640                  // 00000000AD44: D89A7F80 00007214
	s_waitcnt lgkmcnt(0)                                       // 00000000AD4C: BF8CC07F
	s_barrier                                                  // 00000000AD50: BF8A0000
	ds_read_b32 v54, v21                                       // 00000000AD54: D86C0000 36000015
	ds_read_b32 v55, v21 offset:64                             // 00000000AD5C: D86C0040 37000015
	ds_read_b32 v58, v21 offset:2176                           // 00000000AD64: D86C0880 3A000015
	ds_read_b32 v59, v21 offset:2240                           // 00000000AD6C: D86C08C0 3B000015
	ds_read_b32 v62, v21 offset:4352                           // 00000000AD74: D86C1100 3E000015
	ds_read_b32 v63, v21 offset:4416                           // 00000000AD7C: D86C1140 3F000015
	ds_read_b32 v66, v21 offset:6528                           // 00000000AD84: D86C1980 42000015
	ds_read_b32 v67, v21 offset:6592                           // 00000000AD8C: D86C19C0 43000015
	ds_read_b32 v70, v21 offset:8704                           // 00000000AD94: D86C2200 46000015
	ds_read_b32 v71, v21 offset:8768                           // 00000000AD9C: D86C2240 47000015
	ds_read_b32 v74, v21 offset:10880                          // 00000000ADA4: D86C2A80 4A000015
	ds_read_b32 v75, v21 offset:10944                          // 00000000ADAC: D86C2AC0 4B000015
	ds_read_b32 v78, v21 offset:13056                          // 00000000ADB4: D86C3300 4E000015
	ds_read_b32 v79, v21 offset:13120                          // 00000000ADBC: D86C3340 4F000015
	ds_read_b32 v82, v21 offset:15232                          // 00000000ADC4: D86C3B80 52000015
	ds_read_b32 v83, v21 offset:15296                          // 00000000ADCC: D86C3BC0 53000015
	ds_read_b32 v86, v21 offset:17408                          // 00000000ADD4: D86C4400 56000015
	ds_read_b32 v87, v21 offset:17472                          // 00000000ADDC: D86C4440 57000015
	ds_read_b32 v90, v21 offset:19584                          // 00000000ADE4: D86C4C80 5A000015
	ds_read_b32 v91, v21 offset:19648                          // 00000000ADEC: D86C4CC0 5B000015
	ds_read_b32 v94, v21 offset:21760                          // 00000000ADF4: D86C5500 5E000015
	ds_read_b32 v95, v21 offset:21824                          // 00000000ADFC: D86C5540 5F000015
	ds_read_b32 v98, v21 offset:23936                          // 00000000AE04: D86C5D80 62000015
	ds_read_b32 v99, v21 offset:24000                          // 00000000AE0C: D86C5DC0 63000015
	ds_read_b32 v102, v21 offset:26112                         // 00000000AE14: D86C6600 66000015
	ds_read_b32 v103, v21 offset:26176                         // 00000000AE1C: D86C6640 67000015
	ds_read_b32 v106, v21 offset:28288                         // 00000000AE24: D86C6E80 6A000015
	ds_read_b32 v107, v21 offset:28352                         // 00000000AE2C: D86C6EC0 6B000015
	ds_read_b32 v110, v21 offset:30464                         // 00000000AE34: D86C7700 6E000015
	ds_read_b32 v111, v21 offset:30528                         // 00000000AE3C: D86C7740 6F000015
	ds_read_b32 v114, v21 offset:32640                         // 00000000AE44: D86C7F80 72000015
	ds_read_b32 v115, v21 offset:32704                         // 00000000AE4C: D86C7FC0 73000015
	s_waitcnt lgkmcnt(0)                                       // 00000000AE54: BF8CC07F
	v_mov_b32_e32 v7, 0                                        // 00000000AE58: 7E0E0280
	s_mov_b64 exec, s[36:37]                                   // 00000000AE5C: BEFE0124
	v_mov_b32_e32 v6, v37                                      // 00000000AE60: 7E0C0325
	s_mov_b64 s[60:61], 0                                      // 00000000AE64: BEBC0180
	v_readlane_b32 s82, v3, 0                                  // 00000000AE68: D2890052 00010103
	s_and_b32 s82, s82, 0xffffff                               // 00000000AE70: 8652FF52 00FFFFFF
	s_cmp_lt_u32 s82, s66                                      // 00000000AE78: BF0A4252
	s_cselect_b32 s20, s36, s60                                // 00000000AE7C: 85143C24
	v_readlane_b32 s82, v3, 1                                  // 00000000AE80: D2890052 00010303
	s_and_b32 s82, s82, 0xffffff                               // 00000000AE88: 8652FF52 00FFFFFF
	s_cmp_lt_u32 s82, s66                                      // 00000000AE90: BF0A4252
	s_cselect_b32 s21, s36, s60                                // 00000000AE94: 85153C24
	s_mov_b64 exec, s[20:21]                                   // 00000000AE98: BEFE0114
	global_atomic_add_f32 v6, v54, s[8:9] offset:8             // 00000000AE9C: DD348008 00083606
	global_atomic_add_f32 v6, v58, s[8:9] offset:264           // 00000000AEA4: DD348108 00083A06
	global_atomic_add_f32 v6, v62, s[8:9] offset:520           // 00000000AEAC: DD348208 00083E06
	global_atomic_add_f32 v6, v66, s[8:9] offset:776           // 00000000AEB4: DD348308 00084206
	global_atomic_add_f32 v6, v70, s[8:9] offset:1032          // 00000000AEBC: DD348408 00084606
	global_atomic_add_f32 v6, v74, s[8:9] offset:1288          // 00000000AEC4: DD348508 00084A06
	global_atomic_add_f32 v6, v78, s[8:9] offset:1544          // 00000000AECC: DD348608 00084E06
	global_atomic_add_f32 v6, v82, s[8:9] offset:1800          // 00000000AED4: DD348708 00085206
	s_mov_b64 exec, s[36:37]                                   // 00000000AEDC: BEFE0124
	v_mov_b32_e32 v6, v38                                      // 00000000AEE0: 7E0C0326
	s_mov_b64 s[60:61], 0                                      // 00000000AEE4: BEBC0180
	v_readlane_b32 s82, v3, 2                                  // 00000000AEE8: D2890052 00010503
	s_and_b32 s82, s82, 0xffffff                               // 00000000AEF0: 8652FF52 00FFFFFF
	s_cmp_lt_u32 s82, s66                                      // 00000000AEF8: BF0A4252
	s_cselect_b32 s20, s36, s60                                // 00000000AEFC: 85143C24
	v_readlane_b32 s82, v3, 3                                  // 00000000AF00: D2890052 00010703
	s_and_b32 s82, s82, 0xffffff                               // 00000000AF08: 8652FF52 00FFFFFF
	s_cmp_lt_u32 s82, s66                                      // 00000000AF10: BF0A4252
	s_cselect_b32 s21, s36, s60                                // 00000000AF14: 85153C24
	s_mov_b64 exec, s[20:21]                                   // 00000000AF18: BEFE0114
	global_atomic_add_f32 v6, v55, s[8:9] offset:8             // 00000000AF1C: DD348008 00083706
	global_atomic_add_f32 v6, v59, s[8:9] offset:264           // 00000000AF24: DD348108 00083B06
	global_atomic_add_f32 v6, v63, s[8:9] offset:520           // 00000000AF2C: DD348208 00083F06
	global_atomic_add_f32 v6, v67, s[8:9] offset:776           // 00000000AF34: DD348308 00084306
	global_atomic_add_f32 v6, v71, s[8:9] offset:1032          // 00000000AF3C: DD348408 00084706
	global_atomic_add_f32 v6, v75, s[8:9] offset:1288          // 00000000AF44: DD348508 00084B06
	global_atomic_add_f32 v6, v79, s[8:9] offset:1544          // 00000000AF4C: DD348608 00084F06
	global_atomic_add_f32 v6, v83, s[8:9] offset:1800          // 00000000AF54: DD348708 00085306
	s_mov_b64 exec, s[36:37]                                   // 00000000AF5C: BEFE0124
	v_mov_b32_e32 v6, v39                                      // 00000000AF60: 7E0C0327
	s_mov_b64 s[60:61], 0                                      // 00000000AF64: BEBC0180
	v_readlane_b32 s82, v3, 4                                  // 00000000AF68: D2890052 00010903
	s_and_b32 s82, s82, 0xffffff                               // 00000000AF70: 8652FF52 00FFFFFF
	s_cmp_lt_u32 s82, s66                                      // 00000000AF78: BF0A4252
	s_cselect_b32 s20, s36, s60                                // 00000000AF7C: 85143C24
	v_readlane_b32 s82, v3, 5                                  // 00000000AF80: D2890052 00010B03
	s_and_b32 s82, s82, 0xffffff                               // 00000000AF88: 8652FF52 00FFFFFF
	s_cmp_lt_u32 s82, s66                                      // 00000000AF90: BF0A4252
	s_cselect_b32 s21, s36, s60                                // 00000000AF94: 85153C24
	s_mov_b64 exec, s[20:21]                                   // 00000000AF98: BEFE0114
	global_atomic_add_f32 v6, v86, s[8:9] offset:8             // 00000000AF9C: DD348008 00085606
	global_atomic_add_f32 v6, v90, s[8:9] offset:264           // 00000000AFA4: DD348108 00085A06
	global_atomic_add_f32 v6, v94, s[8:9] offset:520           // 00000000AFAC: DD348208 00085E06
	global_atomic_add_f32 v6, v98, s[8:9] offset:776           // 00000000AFB4: DD348308 00086206
	global_atomic_add_f32 v6, v102, s[8:9] offset:1032         // 00000000AFBC: DD348408 00086606
	global_atomic_add_f32 v6, v106, s[8:9] offset:1288         // 00000000AFC4: DD348508 00086A06
	global_atomic_add_f32 v6, v110, s[8:9] offset:1544         // 00000000AFCC: DD348608 00086E06
	global_atomic_add_f32 v6, v114, s[8:9] offset:1800         // 00000000AFD4: DD348708 00087206
	s_mov_b64 exec, s[36:37]                                   // 00000000AFDC: BEFE0124
	v_mov_b32_e32 v6, v40                                      // 00000000AFE0: 7E0C0328
	s_mov_b64 s[60:61], 0                                      // 00000000AFE4: BEBC0180
	v_readlane_b32 s82, v3, 6                                  // 00000000AFE8: D2890052 00010D03
	s_and_b32 s82, s82, 0xffffff                               // 00000000AFF0: 8652FF52 00FFFFFF
	s_cmp_lt_u32 s82, s66                                      // 00000000AFF8: BF0A4252
	s_cselect_b32 s20, s36, s60                                // 00000000AFFC: 85143C24
	v_readlane_b32 s82, v3, 7                                  // 00000000B000: D2890052 00010F03
	s_and_b32 s82, s82, 0xffffff                               // 00000000B008: 8652FF52 00FFFFFF
	s_cmp_lt_u32 s82, s66                                      // 00000000B010: BF0A4252
	s_cselect_b32 s21, s36, s60                                // 00000000B014: 85153C24
	s_mov_b64 exec, s[20:21]                                   // 00000000B018: BEFE0114
	global_atomic_add_f32 v6, v87, s[8:9] offset:8             // 00000000B01C: DD348008 00085706
	global_atomic_add_f32 v6, v91, s[8:9] offset:264           // 00000000B024: DD348108 00085B06
	global_atomic_add_f32 v6, v95, s[8:9] offset:520           // 00000000B02C: DD348208 00085F06
	global_atomic_add_f32 v6, v99, s[8:9] offset:776           // 00000000B034: DD348308 00086306
	global_atomic_add_f32 v6, v103, s[8:9] offset:1032         // 00000000B03C: DD348408 00086706
	global_atomic_add_f32 v6, v107, s[8:9] offset:1288         // 00000000B044: DD348508 00086B06
	global_atomic_add_f32 v6, v111, s[8:9] offset:1544         // 00000000B04C: DD348608 00086F06
	global_atomic_add_f32 v6, v115, s[8:9] offset:1800         // 00000000B054: DD348708 00087306
	s_mov_b64 exec, s[36:37]                                   // 00000000B05C: BEFE0124
	ds_write_b64 v20, v[116:117]                               // 00000000B060: D89A0000 00007414
	ds_write_b64 v20, v[120:121] offset:17408                  // 00000000B068: D89A4400 00007814
	ds_write_b64 v20, v[124:125] offset:2176                   // 00000000B070: D89A0880 00007C14
	ds_write_b64 v20, v[128:129] offset:19584                  // 00000000B078: D89A4C80 00008014
	ds_write_b64 v20, v[132:133] offset:4352                   // 00000000B080: D89A1100 00008414
	ds_write_b64 v20, v[136:137] offset:21760                  // 00000000B088: D89A5500 00008814
	ds_write_b64 v20, v[140:141] offset:6528                   // 00000000B090: D89A1980 00008C14
	ds_write_b64 v20, v[144:145] offset:23936                  // 00000000B098: D89A5D80 00009014
	ds_write_b64 v20, v[148:149] offset:8704                   // 00000000B0A0: D89A2200 00009414
	ds_write_b64 v20, v[152:153] offset:26112                  // 00000000B0A8: D89A6600 00009814
	ds_write_b64 v20, v[156:157] offset:10880                  // 00000000B0B0: D89A2A80 00009C14
	ds_write_b64 v20, v[160:161] offset:28288                  // 00000000B0B8: D89A6E80 0000A014
	ds_write_b64 v20, v[164:165] offset:13056                  // 00000000B0C0: D89A3300 0000A414
	ds_write_b64 v20, v[168:169] offset:30464                  // 00000000B0C8: D89A7700 0000A814
	ds_write_b64 v20, v[172:173] offset:15232                  // 00000000B0D0: D89A3B80 0000AC14
	ds_write_b64 v20, v[176:177] offset:32640                  // 00000000B0D8: D89A7F80 0000B014
	s_waitcnt lgkmcnt(0)                                       // 00000000B0E0: BF8CC07F
	s_barrier                                                  // 00000000B0E4: BF8A0000
	ds_read_b32 v116, v21                                      // 00000000B0E8: D86C0000 74000015
	ds_read_b32 v117, v21 offset:64                            // 00000000B0F0: D86C0040 75000015
	ds_read_b32 v120, v21 offset:2176                          // 00000000B0F8: D86C0880 78000015
	ds_read_b32 v121, v21 offset:2240                          // 00000000B100: D86C08C0 79000015
	ds_read_b32 v124, v21 offset:4352                          // 00000000B108: D86C1100 7C000015
	ds_read_b32 v125, v21 offset:4416                          // 00000000B110: D86C1140 7D000015
	ds_read_b32 v128, v21 offset:6528                          // 00000000B118: D86C1980 80000015
	ds_read_b32 v129, v21 offset:6592                          // 00000000B120: D86C19C0 81000015
	ds_read_b32 v132, v21 offset:8704                          // 00000000B128: D86C2200 84000015
	ds_read_b32 v133, v21 offset:8768                          // 00000000B130: D86C2240 85000015
	ds_read_b32 v136, v21 offset:10880                         // 00000000B138: D86C2A80 88000015
	ds_read_b32 v137, v21 offset:10944                         // 00000000B140: D86C2AC0 89000015
	ds_read_b32 v140, v21 offset:13056                         // 00000000B148: D86C3300 8C000015
	ds_read_b32 v141, v21 offset:13120                         // 00000000B150: D86C3340 8D000015
	ds_read_b32 v144, v21 offset:15232                         // 00000000B158: D86C3B80 90000015
	ds_read_b32 v145, v21 offset:15296                         // 00000000B160: D86C3BC0 91000015
	ds_read_b32 v148, v21 offset:17408                         // 00000000B168: D86C4400 94000015
	ds_read_b32 v149, v21 offset:17472                         // 00000000B170: D86C4440 95000015
	ds_read_b32 v152, v21 offset:19584                         // 00000000B178: D86C4C80 98000015
	ds_read_b32 v153, v21 offset:19648                         // 00000000B180: D86C4CC0 99000015
	ds_read_b32 v156, v21 offset:21760                         // 00000000B188: D86C5500 9C000015
	ds_read_b32 v157, v21 offset:21824                         // 00000000B190: D86C5540 9D000015
	ds_read_b32 v160, v21 offset:23936                         // 00000000B198: D86C5D80 A0000015
	ds_read_b32 v161, v21 offset:24000                         // 00000000B1A0: D86C5DC0 A1000015
	ds_read_b32 v164, v21 offset:26112                         // 00000000B1A8: D86C6600 A4000015
	ds_read_b32 v165, v21 offset:26176                         // 00000000B1B0: D86C6640 A5000015
	ds_read_b32 v168, v21 offset:28288                         // 00000000B1B8: D86C6E80 A8000015
	ds_read_b32 v169, v21 offset:28352                         // 00000000B1C0: D86C6EC0 A9000015
	ds_read_b32 v172, v21 offset:30464                         // 00000000B1C8: D86C7700 AC000015
	ds_read_b32 v173, v21 offset:30528                         // 00000000B1D0: D86C7740 AD000015
	ds_read_b32 v176, v21 offset:32640                         // 00000000B1D8: D86C7F80 B0000015
	ds_read_b32 v177, v21 offset:32704                         // 00000000B1E0: D86C7FC0 B1000015
	s_mul_i32 s60, s65, 4                                      // 00000000B1E8: 923C8441
	s_add_u32 s8, s60, s8                                      // 00000000B1EC: 8008083C
	s_addc_u32 s9, 0, s9                                       // 00000000B1F0: 82090980
	s_waitcnt lgkmcnt(0)                                       // 00000000B1F4: BF8CC07F
	v_mov_b32_e32 v7, 0                                        // 00000000B1F8: 7E0E0280
	s_mov_b64 exec, s[36:37]                                   // 00000000B1FC: BEFE0124
	v_mov_b32_e32 v6, v37                                      // 00000000B200: 7E0C0325
	s_mov_b64 s[60:61], 0                                      // 00000000B204: BEBC0180
	v_readlane_b32 s82, v3, 0                                  // 00000000B208: D2890052 00010103
	s_and_b32 s82, s82, 0xffffff                               // 00000000B210: 8652FF52 00FFFFFF
	s_cmp_lt_u32 s82, s66                                      // 00000000B218: BF0A4252
	s_cselect_b32 s20, s36, s60                                // 00000000B21C: 85143C24
	v_readlane_b32 s82, v3, 1                                  // 00000000B220: D2890052 00010303
	s_and_b32 s82, s82, 0xffffff                               // 00000000B228: 8652FF52 00FFFFFF
	s_cmp_lt_u32 s82, s66                                      // 00000000B230: BF0A4252
	s_cselect_b32 s21, s36, s60                                // 00000000B234: 85153C24
	s_mov_b64 exec, s[20:21]                                   // 00000000B238: BEFE0114
	global_atomic_add_f32 v6, v116, s[8:9]                     // 00000000B23C: DD348000 00087406
	global_atomic_add_f32 v6, v120, s[8:9] offset:256          // 00000000B244: DD348100 00087806
	global_atomic_add_f32 v6, v124, s[8:9] offset:512          // 00000000B24C: DD348200 00087C06
	global_atomic_add_f32 v6, v128, s[8:9] offset:768          // 00000000B254: DD348300 00088006
	global_atomic_add_f32 v6, v132, s[8:9] offset:1024         // 00000000B25C: DD348400 00088406
	global_atomic_add_f32 v6, v136, s[8:9] offset:1280         // 00000000B264: DD348500 00088806
	global_atomic_add_f32 v6, v140, s[8:9] offset:1536         // 00000000B26C: DD348600 00088C06
	global_atomic_add_f32 v6, v144, s[8:9] offset:1792         // 00000000B274: DD348700 00089006
	s_mov_b64 exec, s[36:37]                                   // 00000000B27C: BEFE0124
	v_mov_b32_e32 v6, v38                                      // 00000000B280: 7E0C0326
	s_mov_b64 s[60:61], 0                                      // 00000000B284: BEBC0180
	v_readlane_b32 s82, v3, 2                                  // 00000000B288: D2890052 00010503
	s_and_b32 s82, s82, 0xffffff                               // 00000000B290: 8652FF52 00FFFFFF
	s_cmp_lt_u32 s82, s66                                      // 00000000B298: BF0A4252
	s_cselect_b32 s20, s36, s60                                // 00000000B29C: 85143C24
	v_readlane_b32 s82, v3, 3                                  // 00000000B2A0: D2890052 00010703
	s_and_b32 s82, s82, 0xffffff                               // 00000000B2A8: 8652FF52 00FFFFFF
	s_cmp_lt_u32 s82, s66                                      // 00000000B2B0: BF0A4252
	s_cselect_b32 s21, s36, s60                                // 00000000B2B4: 85153C24
	s_mov_b64 exec, s[20:21]                                   // 00000000B2B8: BEFE0114
	global_atomic_add_f32 v6, v117, s[8:9]                     // 00000000B2BC: DD348000 00087506
	global_atomic_add_f32 v6, v121, s[8:9] offset:256          // 00000000B2C4: DD348100 00087906
	global_atomic_add_f32 v6, v125, s[8:9] offset:512          // 00000000B2CC: DD348200 00087D06
	global_atomic_add_f32 v6, v129, s[8:9] offset:768          // 00000000B2D4: DD348300 00088106
	global_atomic_add_f32 v6, v133, s[8:9] offset:1024         // 00000000B2DC: DD348400 00088506
	global_atomic_add_f32 v6, v137, s[8:9] offset:1280         // 00000000B2E4: DD348500 00088906
	global_atomic_add_f32 v6, v141, s[8:9] offset:1536         // 00000000B2EC: DD348600 00088D06
	global_atomic_add_f32 v6, v145, s[8:9] offset:1792         // 00000000B2F4: DD348700 00089106
	s_mov_b64 exec, s[36:37]                                   // 00000000B2FC: BEFE0124
	v_mov_b32_e32 v6, v39                                      // 00000000B300: 7E0C0327
	s_mov_b64 s[60:61], 0                                      // 00000000B304: BEBC0180
	v_readlane_b32 s82, v3, 4                                  // 00000000B308: D2890052 00010903
	s_and_b32 s82, s82, 0xffffff                               // 00000000B310: 8652FF52 00FFFFFF
	s_cmp_lt_u32 s82, s66                                      // 00000000B318: BF0A4252
	s_cselect_b32 s20, s36, s60                                // 00000000B31C: 85143C24
	v_readlane_b32 s82, v3, 5                                  // 00000000B320: D2890052 00010B03
	s_and_b32 s82, s82, 0xffffff                               // 00000000B328: 8652FF52 00FFFFFF
	s_cmp_lt_u32 s82, s66                                      // 00000000B330: BF0A4252
	s_cselect_b32 s21, s36, s60                                // 00000000B334: 85153C24
	s_mov_b64 exec, s[20:21]                                   // 00000000B338: BEFE0114
	global_atomic_add_f32 v6, v148, s[8:9]                     // 00000000B33C: DD348000 00089406
	global_atomic_add_f32 v6, v152, s[8:9] offset:256          // 00000000B344: DD348100 00089806
	global_atomic_add_f32 v6, v156, s[8:9] offset:512          // 00000000B34C: DD348200 00089C06
	global_atomic_add_f32 v6, v160, s[8:9] offset:768          // 00000000B354: DD348300 0008A006
	global_atomic_add_f32 v6, v164, s[8:9] offset:1024         // 00000000B35C: DD348400 0008A406
	global_atomic_add_f32 v6, v168, s[8:9] offset:1280         // 00000000B364: DD348500 0008A806
	global_atomic_add_f32 v6, v172, s[8:9] offset:1536         // 00000000B36C: DD348600 0008AC06
	global_atomic_add_f32 v6, v176, s[8:9] offset:1792         // 00000000B374: DD348700 0008B006
	s_mov_b64 exec, s[36:37]                                   // 00000000B37C: BEFE0124
	v_mov_b32_e32 v6, v40                                      // 00000000B380: 7E0C0328
	s_mov_b64 s[60:61], 0                                      // 00000000B384: BEBC0180
	v_readlane_b32 s82, v3, 6                                  // 00000000B388: D2890052 00010D03
	s_and_b32 s82, s82, 0xffffff                               // 00000000B390: 8652FF52 00FFFFFF
	s_cmp_lt_u32 s82, s66                                      // 00000000B398: BF0A4252
	s_cselect_b32 s20, s36, s60                                // 00000000B39C: 85143C24
	v_readlane_b32 s82, v3, 7                                  // 00000000B3A0: D2890052 00010F03
	s_and_b32 s82, s82, 0xffffff                               // 00000000B3A8: 8652FF52 00FFFFFF
	s_cmp_lt_u32 s82, s66                                      // 00000000B3B0: BF0A4252
	s_cselect_b32 s21, s36, s60                                // 00000000B3B4: 85153C24
	s_mov_b64 exec, s[20:21]                                   // 00000000B3B8: BEFE0114
	global_atomic_add_f32 v6, v149, s[8:9]                     // 00000000B3BC: DD348000 00089506
	global_atomic_add_f32 v6, v153, s[8:9] offset:256          // 00000000B3C4: DD348100 00089906
	global_atomic_add_f32 v6, v157, s[8:9] offset:512          // 00000000B3CC: DD348200 00089D06
	global_atomic_add_f32 v6, v161, s[8:9] offset:768          // 00000000B3D4: DD348300 0008A106
	global_atomic_add_f32 v6, v165, s[8:9] offset:1024         // 00000000B3DC: DD348400 0008A506
	global_atomic_add_f32 v6, v169, s[8:9] offset:1280         // 00000000B3E4: DD348500 0008A906
	global_atomic_add_f32 v6, v173, s[8:9] offset:1536         // 00000000B3EC: DD348600 0008AD06
	global_atomic_add_f32 v6, v177, s[8:9] offset:1792         // 00000000B3F4: DD348700 0008B106
	s_mov_b64 exec, s[36:37]                                   // 00000000B3FC: BEFE0124
	ds_write_b64 v20, v[118:119]                               // 00000000B400: D89A0000 00007614
	ds_write_b64 v20, v[122:123] offset:17408                  // 00000000B408: D89A4400 00007A14
	ds_write_b64 v20, v[126:127] offset:2176                   // 00000000B410: D89A0880 00007E14
	ds_write_b64 v20, v[130:131] offset:19584                  // 00000000B418: D89A4C80 00008214
	ds_write_b64 v20, v[134:135] offset:4352                   // 00000000B420: D89A1100 00008614
	ds_write_b64 v20, v[138:139] offset:21760                  // 00000000B428: D89A5500 00008A14
	ds_write_b64 v20, v[142:143] offset:6528                   // 00000000B430: D89A1980 00008E14
	ds_write_b64 v20, v[146:147] offset:23936                  // 00000000B438: D89A5D80 00009214
	ds_write_b64 v20, v[150:151] offset:8704                   // 00000000B440: D89A2200 00009614
	ds_write_b64 v20, v[154:155] offset:26112                  // 00000000B448: D89A6600 00009A14
	ds_write_b64 v20, v[158:159] offset:10880                  // 00000000B450: D89A2A80 00009E14
	ds_write_b64 v20, v[162:163] offset:28288                  // 00000000B458: D89A6E80 0000A214
	ds_write_b64 v20, v[166:167] offset:13056                  // 00000000B460: D89A3300 0000A614
	ds_write_b64 v20, v[170:171] offset:30464                  // 00000000B468: D89A7700 0000AA14
	ds_write_b64 v20, v[174:175] offset:15232                  // 00000000B470: D89A3B80 0000AE14
	ds_write_b64 v20, v[178:179] offset:32640                  // 00000000B478: D89A7F80 0000B214
	s_waitcnt lgkmcnt(0)                                       // 00000000B480: BF8CC07F
	s_barrier                                                  // 00000000B484: BF8A0000
	ds_read_b32 v118, v21                                      // 00000000B488: D86C0000 76000015
	ds_read_b32 v119, v21 offset:64                            // 00000000B490: D86C0040 77000015
	ds_read_b32 v122, v21 offset:2176                          // 00000000B498: D86C0880 7A000015
	ds_read_b32 v123, v21 offset:2240                          // 00000000B4A0: D86C08C0 7B000015
	ds_read_b32 v126, v21 offset:4352                          // 00000000B4A8: D86C1100 7E000015
	ds_read_b32 v127, v21 offset:4416                          // 00000000B4B0: D86C1140 7F000015
	ds_read_b32 v130, v21 offset:6528                          // 00000000B4B8: D86C1980 82000015
	ds_read_b32 v131, v21 offset:6592                          // 00000000B4C0: D86C19C0 83000015
	ds_read_b32 v134, v21 offset:8704                          // 00000000B4C8: D86C2200 86000015
	ds_read_b32 v135, v21 offset:8768                          // 00000000B4D0: D86C2240 87000015
	ds_read_b32 v138, v21 offset:10880                         // 00000000B4D8: D86C2A80 8A000015
	ds_read_b32 v139, v21 offset:10944                         // 00000000B4E0: D86C2AC0 8B000015
	ds_read_b32 v142, v21 offset:13056                         // 00000000B4E8: D86C3300 8E000015
	ds_read_b32 v143, v21 offset:13120                         // 00000000B4F0: D86C3340 8F000015
	ds_read_b32 v146, v21 offset:15232                         // 00000000B4F8: D86C3B80 92000015
	ds_read_b32 v147, v21 offset:15296                         // 00000000B500: D86C3BC0 93000015
	ds_read_b32 v150, v21 offset:17408                         // 00000000B508: D86C4400 96000015
	ds_read_b32 v151, v21 offset:17472                         // 00000000B510: D86C4440 97000015
	ds_read_b32 v154, v21 offset:19584                         // 00000000B518: D86C4C80 9A000015
	ds_read_b32 v155, v21 offset:19648                         // 00000000B520: D86C4CC0 9B000015
	ds_read_b32 v158, v21 offset:21760                         // 00000000B528: D86C5500 9E000015
	ds_read_b32 v159, v21 offset:21824                         // 00000000B530: D86C5540 9F000015
	ds_read_b32 v162, v21 offset:23936                         // 00000000B538: D86C5D80 A2000015
	ds_read_b32 v163, v21 offset:24000                         // 00000000B540: D86C5DC0 A3000015
	ds_read_b32 v166, v21 offset:26112                         // 00000000B548: D86C6600 A6000015
	ds_read_b32 v167, v21 offset:26176                         // 00000000B550: D86C6640 A7000015
	ds_read_b32 v170, v21 offset:28288                         // 00000000B558: D86C6E80 AA000015
	ds_read_b32 v171, v21 offset:28352                         // 00000000B560: D86C6EC0 AB000015
	ds_read_b32 v174, v21 offset:30464                         // 00000000B568: D86C7700 AE000015
	ds_read_b32 v175, v21 offset:30528                         // 00000000B570: D86C7740 AF000015
	ds_read_b32 v178, v21 offset:32640                         // 00000000B578: D86C7F80 B2000015
	ds_read_b32 v179, v21 offset:32704                         // 00000000B580: D86C7FC0 B3000015
	s_waitcnt lgkmcnt(0)                                       // 00000000B588: BF8CC07F
	v_mov_b32_e32 v7, 0                                        // 00000000B58C: 7E0E0280
	s_mov_b64 exec, s[36:37]                                   // 00000000B590: BEFE0124
	v_mov_b32_e32 v6, v37                                      // 00000000B594: 7E0C0325
	s_mov_b64 s[60:61], 0                                      // 00000000B598: BEBC0180
	v_readlane_b32 s82, v3, 0                                  // 00000000B59C: D2890052 00010103
	s_and_b32 s82, s82, 0xffffff                               // 00000000B5A4: 8652FF52 00FFFFFF
	s_cmp_lt_u32 s82, s66                                      // 00000000B5AC: BF0A4252
	s_cselect_b32 s20, s36, s60                                // 00000000B5B0: 85143C24
	v_readlane_b32 s82, v3, 1                                  // 00000000B5B4: D2890052 00010303
	s_and_b32 s82, s82, 0xffffff                               // 00000000B5BC: 8652FF52 00FFFFFF
	s_cmp_lt_u32 s82, s66                                      // 00000000B5C4: BF0A4252
	s_cselect_b32 s21, s36, s60                                // 00000000B5C8: 85153C24
	s_mov_b64 exec, s[20:21]                                   // 00000000B5CC: BEFE0114
	global_atomic_add_f32 v6, v118, s[8:9] offset:8            // 00000000B5D0: DD348008 00087606
	global_atomic_add_f32 v6, v122, s[8:9] offset:264          // 00000000B5D8: DD348108 00087A06
	global_atomic_add_f32 v6, v126, s[8:9] offset:520          // 00000000B5E0: DD348208 00087E06
	global_atomic_add_f32 v6, v130, s[8:9] offset:776          // 00000000B5E8: DD348308 00088206
	global_atomic_add_f32 v6, v134, s[8:9] offset:1032         // 00000000B5F0: DD348408 00088606
	global_atomic_add_f32 v6, v138, s[8:9] offset:1288         // 00000000B5F8: DD348508 00088A06
	global_atomic_add_f32 v6, v142, s[8:9] offset:1544         // 00000000B600: DD348608 00088E06
	global_atomic_add_f32 v6, v146, s[8:9] offset:1800         // 00000000B608: DD348708 00089206
	s_mov_b64 exec, s[36:37]                                   // 00000000B610: BEFE0124
	v_mov_b32_e32 v6, v38                                      // 00000000B614: 7E0C0326
	s_mov_b64 s[60:61], 0                                      // 00000000B618: BEBC0180
	v_readlane_b32 s82, v3, 2                                  // 00000000B61C: D2890052 00010503
	s_and_b32 s82, s82, 0xffffff                               // 00000000B624: 8652FF52 00FFFFFF
	s_cmp_lt_u32 s82, s66                                      // 00000000B62C: BF0A4252
	s_cselect_b32 s20, s36, s60                                // 00000000B630: 85143C24
	v_readlane_b32 s82, v3, 3                                  // 00000000B634: D2890052 00010703
	s_and_b32 s82, s82, 0xffffff                               // 00000000B63C: 8652FF52 00FFFFFF
	s_cmp_lt_u32 s82, s66                                      // 00000000B644: BF0A4252
	s_cselect_b32 s21, s36, s60                                // 00000000B648: 85153C24
	s_mov_b64 exec, s[20:21]                                   // 00000000B64C: BEFE0114
	global_atomic_add_f32 v6, v119, s[8:9] offset:8            // 00000000B650: DD348008 00087706
	global_atomic_add_f32 v6, v123, s[8:9] offset:264          // 00000000B658: DD348108 00087B06
	global_atomic_add_f32 v6, v127, s[8:9] offset:520          // 00000000B660: DD348208 00087F06
	global_atomic_add_f32 v6, v131, s[8:9] offset:776          // 00000000B668: DD348308 00088306
	global_atomic_add_f32 v6, v135, s[8:9] offset:1032         // 00000000B670: DD348408 00088706
	global_atomic_add_f32 v6, v139, s[8:9] offset:1288         // 00000000B678: DD348508 00088B06
	global_atomic_add_f32 v6, v143, s[8:9] offset:1544         // 00000000B680: DD348608 00088F06
	global_atomic_add_f32 v6, v147, s[8:9] offset:1800         // 00000000B688: DD348708 00089306
	s_mov_b64 exec, s[36:37]                                   // 00000000B690: BEFE0124
	v_mov_b32_e32 v6, v39                                      // 00000000B694: 7E0C0327
	s_mov_b64 s[60:61], 0                                      // 00000000B698: BEBC0180
	v_readlane_b32 s82, v3, 4                                  // 00000000B69C: D2890052 00010903
	s_and_b32 s82, s82, 0xffffff                               // 00000000B6A4: 8652FF52 00FFFFFF
	s_cmp_lt_u32 s82, s66                                      // 00000000B6AC: BF0A4252
	s_cselect_b32 s20, s36, s60                                // 00000000B6B0: 85143C24
	v_readlane_b32 s82, v3, 5                                  // 00000000B6B4: D2890052 00010B03
	s_and_b32 s82, s82, 0xffffff                               // 00000000B6BC: 8652FF52 00FFFFFF
	s_cmp_lt_u32 s82, s66                                      // 00000000B6C4: BF0A4252
	s_cselect_b32 s21, s36, s60                                // 00000000B6C8: 85153C24
	s_mov_b64 exec, s[20:21]                                   // 00000000B6CC: BEFE0114
	global_atomic_add_f32 v6, v150, s[8:9] offset:8            // 00000000B6D0: DD348008 00089606
	global_atomic_add_f32 v6, v154, s[8:9] offset:264          // 00000000B6D8: DD348108 00089A06
	global_atomic_add_f32 v6, v158, s[8:9] offset:520          // 00000000B6E0: DD348208 00089E06
	global_atomic_add_f32 v6, v162, s[8:9] offset:776          // 00000000B6E8: DD348308 0008A206
	global_atomic_add_f32 v6, v166, s[8:9] offset:1032         // 00000000B6F0: DD348408 0008A606
	global_atomic_add_f32 v6, v170, s[8:9] offset:1288         // 00000000B6F8: DD348508 0008AA06
	global_atomic_add_f32 v6, v174, s[8:9] offset:1544         // 00000000B700: DD348608 0008AE06
	global_atomic_add_f32 v6, v178, s[8:9] offset:1800         // 00000000B708: DD348708 0008B206
	s_mov_b64 exec, s[36:37]                                   // 00000000B710: BEFE0124
	v_mov_b32_e32 v6, v40                                      // 00000000B714: 7E0C0328
	s_mov_b64 s[60:61], 0                                      // 00000000B718: BEBC0180
	v_readlane_b32 s82, v3, 6                                  // 00000000B71C: D2890052 00010D03
	s_and_b32 s82, s82, 0xffffff                               // 00000000B724: 8652FF52 00FFFFFF
	s_cmp_lt_u32 s82, s66                                      // 00000000B72C: BF0A4252
	s_cselect_b32 s20, s36, s60                                // 00000000B730: 85143C24
	v_readlane_b32 s82, v3, 7                                  // 00000000B734: D2890052 00010F03
	s_and_b32 s82, s82, 0xffffff                               // 00000000B73C: 8652FF52 00FFFFFF
	s_cmp_lt_u32 s82, s66                                      // 00000000B744: BF0A4252
	s_cselect_b32 s21, s36, s60                                // 00000000B748: 85153C24
	s_mov_b64 exec, s[20:21]                                   // 00000000B74C: BEFE0114
	global_atomic_add_f32 v6, v151, s[8:9] offset:8            // 00000000B750: DD348008 00089706
	global_atomic_add_f32 v6, v155, s[8:9] offset:264          // 00000000B758: DD348108 00089B06
	global_atomic_add_f32 v6, v159, s[8:9] offset:520          // 00000000B760: DD348208 00089F06
	global_atomic_add_f32 v6, v163, s[8:9] offset:776          // 00000000B768: DD348308 0008A306
	global_atomic_add_f32 v6, v167, s[8:9] offset:1032         // 00000000B770: DD348408 0008A706
	global_atomic_add_f32 v6, v171, s[8:9] offset:1288         // 00000000B778: DD348508 0008AB06
	global_atomic_add_f32 v6, v175, s[8:9] offset:1544         // 00000000B780: DD348608 0008AF06
	global_atomic_add_f32 v6, v179, s[8:9] offset:1800         // 00000000B788: DD348708 0008B306
	s_mov_b64 exec, s[36:37]                                   // 00000000B790: BEFE0124
	s_branch label_2369                                        // 00000000B794: BF820000

000000000000b798 <label_2369>:
	s_waitcnt vmcnt(0) expcnt(0) lgkmcnt(0)                    // 00000000B798: BF8C0000
	s_endpgm                                                   // 00000000B79C: BF810000
